;; amdgpu-corpus repo=ROCm/rocFFT kind=compiled arch=gfx950 opt=O3
	.text
	.amdgcn_target "amdgcn-amd-amdhsa--gfx950"
	.amdhsa_code_object_version 6
	.protected	fft_rtc_fwd_len1980_factors_11_2_3_3_5_2_wgs_198_tpt_198_halfLds_sp_ip_CI_unitstride_sbrr_R2C_dirReg ; -- Begin function fft_rtc_fwd_len1980_factors_11_2_3_3_5_2_wgs_198_tpt_198_halfLds_sp_ip_CI_unitstride_sbrr_R2C_dirReg
	.globl	fft_rtc_fwd_len1980_factors_11_2_3_3_5_2_wgs_198_tpt_198_halfLds_sp_ip_CI_unitstride_sbrr_R2C_dirReg
	.p2align	8
	.type	fft_rtc_fwd_len1980_factors_11_2_3_3_5_2_wgs_198_tpt_198_halfLds_sp_ip_CI_unitstride_sbrr_R2C_dirReg,@function
fft_rtc_fwd_len1980_factors_11_2_3_3_5_2_wgs_198_tpt_198_halfLds_sp_ip_CI_unitstride_sbrr_R2C_dirReg: ; @fft_rtc_fwd_len1980_factors_11_2_3_3_5_2_wgs_198_tpt_198_halfLds_sp_ip_CI_unitstride_sbrr_R2C_dirReg
; %bb.0:
	s_load_dwordx2 s[8:9], s[0:1], 0x50
	s_load_dwordx4 s[4:7], s[0:1], 0x0
	s_load_dwordx2 s[10:11], s[0:1], 0x18
	v_mul_u32_u24_e32 v1, 0x14b, v0
	v_add_u32_sdwa v6, s2, v1 dst_sel:DWORD dst_unused:UNUSED_PAD src0_sel:DWORD src1_sel:WORD_1
	v_mov_b32_e32 v4, 0
	s_waitcnt lgkmcnt(0)
	v_cmp_lt_u64_e64 s[2:3], s[6:7], 2
	v_mov_b32_e32 v7, v4
	s_and_b64 vcc, exec, s[2:3]
	v_mov_b64_e32 v[2:3], 0
	s_cbranch_vccnz .LBB0_8
; %bb.1:
	s_load_dwordx2 s[2:3], s[0:1], 0x10
	s_add_u32 s12, s10, 8
	s_addc_u32 s13, s11, 0
	s_mov_b64 s[14:15], 1
	v_mov_b64_e32 v[2:3], 0
	s_waitcnt lgkmcnt(0)
	s_add_u32 s16, s2, 8
	s_addc_u32 s17, s3, 0
.LBB0_2:                                ; =>This Inner Loop Header: Depth=1
	s_load_dwordx2 s[18:19], s[16:17], 0x0
                                        ; implicit-def: $vgpr8_vgpr9
	s_waitcnt lgkmcnt(0)
	v_or_b32_e32 v5, s19, v7
	v_cmp_ne_u64_e32 vcc, 0, v[4:5]
	s_and_saveexec_b64 s[2:3], vcc
	s_xor_b64 s[20:21], exec, s[2:3]
	s_cbranch_execz .LBB0_4
; %bb.3:                                ;   in Loop: Header=BB0_2 Depth=1
	v_cvt_f32_u32_e32 v1, s18
	v_cvt_f32_u32_e32 v5, s19
	s_sub_u32 s2, 0, s18
	s_subb_u32 s3, 0, s19
	v_fmac_f32_e32 v1, 0x4f800000, v5
	v_rcp_f32_e32 v1, v1
	s_nop 0
	v_mul_f32_e32 v1, 0x5f7ffffc, v1
	v_mul_f32_e32 v5, 0x2f800000, v1
	v_trunc_f32_e32 v5, v5
	v_fmac_f32_e32 v1, 0xcf800000, v5
	v_cvt_u32_f32_e32 v5, v5
	v_cvt_u32_f32_e32 v1, v1
	v_mul_lo_u32 v8, s2, v5
	v_mul_hi_u32 v10, s2, v1
	v_mul_lo_u32 v9, s3, v1
	v_add_u32_e32 v10, v10, v8
	v_mul_lo_u32 v12, s2, v1
	v_add_u32_e32 v13, v10, v9
	v_mul_hi_u32 v8, v1, v12
	v_mul_hi_u32 v11, v1, v13
	v_mul_lo_u32 v10, v1, v13
	v_mov_b32_e32 v9, v4
	v_lshl_add_u64 v[8:9], v[8:9], 0, v[10:11]
	v_mul_hi_u32 v11, v5, v12
	v_mul_lo_u32 v12, v5, v12
	v_add_co_u32_e32 v8, vcc, v8, v12
	v_mul_hi_u32 v10, v5, v13
	s_nop 0
	v_addc_co_u32_e32 v8, vcc, v9, v11, vcc
	v_mov_b32_e32 v9, v4
	s_nop 0
	v_addc_co_u32_e32 v11, vcc, 0, v10, vcc
	v_mul_lo_u32 v10, v5, v13
	v_lshl_add_u64 v[8:9], v[8:9], 0, v[10:11]
	v_add_co_u32_e32 v1, vcc, v1, v8
	v_mul_lo_u32 v10, s2, v1
	s_nop 0
	v_addc_co_u32_e32 v5, vcc, v5, v9, vcc
	v_mul_lo_u32 v8, s2, v5
	v_mul_hi_u32 v9, s2, v1
	v_add_u32_e32 v8, v9, v8
	v_mul_lo_u32 v9, s3, v1
	v_add_u32_e32 v12, v8, v9
	v_mul_hi_u32 v14, v5, v10
	v_mul_lo_u32 v15, v5, v10
	v_mul_hi_u32 v9, v1, v12
	v_mul_lo_u32 v8, v1, v12
	v_mul_hi_u32 v10, v1, v10
	v_mov_b32_e32 v11, v4
	v_lshl_add_u64 v[8:9], v[10:11], 0, v[8:9]
	v_add_co_u32_e32 v8, vcc, v8, v15
	v_mul_hi_u32 v13, v5, v12
	s_nop 0
	v_addc_co_u32_e32 v8, vcc, v9, v14, vcc
	v_mul_lo_u32 v10, v5, v12
	s_nop 0
	v_addc_co_u32_e32 v11, vcc, 0, v13, vcc
	v_mov_b32_e32 v9, v4
	v_lshl_add_u64 v[8:9], v[8:9], 0, v[10:11]
	v_add_co_u32_e32 v1, vcc, v1, v8
	v_mul_hi_u32 v10, v6, v1
	s_nop 0
	v_addc_co_u32_e32 v5, vcc, v5, v9, vcc
	v_mad_u64_u32 v[8:9], s[2:3], v6, v5, 0
	v_mov_b32_e32 v11, v4
	v_lshl_add_u64 v[8:9], v[10:11], 0, v[8:9]
	v_mad_u64_u32 v[12:13], s[2:3], v7, v1, 0
	v_add_co_u32_e32 v1, vcc, v8, v12
	v_mad_u64_u32 v[10:11], s[2:3], v7, v5, 0
	s_nop 0
	v_addc_co_u32_e32 v8, vcc, v9, v13, vcc
	v_mov_b32_e32 v9, v4
	s_nop 0
	v_addc_co_u32_e32 v11, vcc, 0, v11, vcc
	v_lshl_add_u64 v[8:9], v[8:9], 0, v[10:11]
	v_mul_lo_u32 v1, s19, v8
	v_mul_lo_u32 v5, s18, v9
	v_mad_u64_u32 v[10:11], s[2:3], s18, v8, 0
	v_add3_u32 v1, v11, v5, v1
	v_sub_u32_e32 v5, v7, v1
	v_mov_b32_e32 v11, s19
	v_sub_co_u32_e32 v14, vcc, v6, v10
	v_lshl_add_u64 v[12:13], v[8:9], 0, 1
	s_nop 0
	v_subb_co_u32_e64 v5, s[2:3], v5, v11, vcc
	v_subrev_co_u32_e64 v10, s[2:3], s18, v14
	v_subb_co_u32_e32 v1, vcc, v7, v1, vcc
	s_nop 0
	v_subbrev_co_u32_e64 v5, s[2:3], 0, v5, s[2:3]
	v_cmp_le_u32_e64 s[2:3], s19, v5
	v_cmp_le_u32_e32 vcc, s19, v1
	s_nop 0
	v_cndmask_b32_e64 v11, 0, -1, s[2:3]
	v_cmp_le_u32_e64 s[2:3], s18, v10
	s_nop 1
	v_cndmask_b32_e64 v10, 0, -1, s[2:3]
	v_cmp_eq_u32_e64 s[2:3], s19, v5
	s_nop 1
	v_cndmask_b32_e64 v5, v11, v10, s[2:3]
	v_lshl_add_u64 v[10:11], v[8:9], 0, 2
	v_cmp_ne_u32_e64 s[2:3], 0, v5
	s_nop 1
	v_cndmask_b32_e64 v5, v13, v11, s[2:3]
	v_cndmask_b32_e64 v11, 0, -1, vcc
	v_cmp_le_u32_e32 vcc, s18, v14
	s_nop 1
	v_cndmask_b32_e64 v13, 0, -1, vcc
	v_cmp_eq_u32_e32 vcc, s19, v1
	s_nop 1
	v_cndmask_b32_e32 v1, v11, v13, vcc
	v_cmp_ne_u32_e32 vcc, 0, v1
	v_cndmask_b32_e64 v1, v12, v10, s[2:3]
	s_nop 0
	v_cndmask_b32_e32 v9, v9, v5, vcc
	v_cndmask_b32_e32 v8, v8, v1, vcc
.LBB0_4:                                ;   in Loop: Header=BB0_2 Depth=1
	s_andn2_saveexec_b64 s[2:3], s[20:21]
	s_cbranch_execz .LBB0_6
; %bb.5:                                ;   in Loop: Header=BB0_2 Depth=1
	v_cvt_f32_u32_e32 v1, s18
	s_sub_i32 s20, 0, s18
	v_rcp_iflag_f32_e32 v1, v1
	s_nop 0
	v_mul_f32_e32 v1, 0x4f7ffffe, v1
	v_cvt_u32_f32_e32 v1, v1
	v_mul_lo_u32 v5, s20, v1
	v_mul_hi_u32 v5, v1, v5
	v_add_u32_e32 v1, v1, v5
	v_mul_hi_u32 v1, v6, v1
	v_mul_lo_u32 v5, v1, s18
	v_sub_u32_e32 v5, v6, v5
	v_add_u32_e32 v8, 1, v1
	v_subrev_u32_e32 v9, s18, v5
	v_cmp_le_u32_e32 vcc, s18, v5
	s_nop 1
	v_cndmask_b32_e32 v5, v5, v9, vcc
	v_cndmask_b32_e32 v1, v1, v8, vcc
	v_add_u32_e32 v8, 1, v1
	v_cmp_le_u32_e32 vcc, s18, v5
	v_mov_b32_e32 v9, v4
	s_nop 0
	v_cndmask_b32_e32 v8, v1, v8, vcc
.LBB0_6:                                ;   in Loop: Header=BB0_2 Depth=1
	s_or_b64 exec, exec, s[2:3]
	v_mad_u64_u32 v[10:11], s[2:3], v8, s18, 0
	s_load_dwordx2 s[2:3], s[12:13], 0x0
	v_mul_lo_u32 v1, v9, s18
	v_mul_lo_u32 v5, v8, s19
	v_add3_u32 v1, v11, v5, v1
	v_sub_co_u32_e32 v5, vcc, v6, v10
	s_add_u32 s14, s14, 1
	s_nop 0
	v_subb_co_u32_e32 v1, vcc, v7, v1, vcc
	s_addc_u32 s15, s15, 0
	s_waitcnt lgkmcnt(0)
	v_mul_lo_u32 v1, s2, v1
	v_mul_lo_u32 v6, s3, v5
	v_mad_u64_u32 v[2:3], s[2:3], s2, v5, v[2:3]
	s_add_u32 s12, s12, 8
	v_add3_u32 v3, v6, v3, v1
	s_addc_u32 s13, s13, 0
	v_mov_b64_e32 v[6:7], s[6:7]
	s_add_u32 s16, s16, 8
	v_cmp_ge_u64_e32 vcc, s[14:15], v[6:7]
	s_addc_u32 s17, s17, 0
	s_cbranch_vccnz .LBB0_9
; %bb.7:                                ;   in Loop: Header=BB0_2 Depth=1
	v_mov_b64_e32 v[6:7], v[8:9]
	s_branch .LBB0_2
.LBB0_8:
	v_mov_b64_e32 v[8:9], v[6:7]
.LBB0_9:
	s_lshl_b64 s[2:3], s[6:7], 3
	s_add_u32 s2, s10, s2
	s_addc_u32 s3, s11, s3
	s_load_dwordx2 s[6:7], s[2:3], 0x0
	s_load_dwordx2 s[10:11], s[0:1], 0x20
	s_mov_b32 s2, 0x14afd6b
	s_waitcnt lgkmcnt(0)
	v_mul_lo_u32 v1, s6, v9
	v_mul_lo_u32 v4, s7, v8
	v_mad_u64_u32 v[2:3], s[0:1], s6, v8, v[2:3]
	v_add3_u32 v3, v4, v3, v1
	v_mul_hi_u32 v1, v0, s2
	v_mul_u32_u24_e32 v1, 0xc6, v1
	v_sub_u32_e32 v22, v0, v1
	v_cmp_gt_u64_e64 s[0:1], s[10:11], v[8:9]
	v_lshl_add_u64 v[20:21], v[2:3], 3, s[8:9]
	v_lshl_add_u32 v68, v22, 3, 0
	s_and_saveexec_b64 s[2:3], s[0:1]
	s_cbranch_execz .LBB0_11
; %bb.10:
	v_mov_b32_e32 v23, 0
	v_lshl_add_u64 v[0:1], v[22:23], 3, v[20:21]
	v_add_co_u32_e32 v2, vcc, 0x1000, v0
	v_add_u32_e32 v23, 0x2400, v68
	s_nop 0
	v_addc_co_u32_e32 v3, vcc, 0, v1, vcc
	v_add_co_u32_e32 v12, vcc, 0x2000, v0
	global_load_dwordx2 v[4:5], v[0:1], off
	global_load_dwordx2 v[6:7], v[0:1], off offset:1584
	global_load_dwordx2 v[8:9], v[0:1], off offset:3168
	;; [unrolled: 1-line block ×3, first 2 shown]
	v_addc_co_u32_e32 v13, vcc, 0, v1, vcc
	v_add_co_u32_e32 v0, vcc, 0x3000, v0
	global_load_dwordx2 v[14:15], v[2:3], off offset:2240
	global_load_dwordx2 v[16:17], v[2:3], off offset:3824
	;; [unrolled: 1-line block ×4, first 2 shown]
	v_addc_co_u32_e32 v1, vcc, 0, v1, vcc
	global_load_dwordx2 v[2:3], v[0:1], off offset:384
	global_load_dwordx2 v[12:13], v[0:1], off offset:1968
	v_add_u32_e32 v0, 0xc00, v68
	v_add_u32_e32 v1, 0x1800, v68
	s_waitcnt vmcnt(8)
	ds_write2_b64 v68, v[4:5], v[6:7] offset1:198
	s_waitcnt vmcnt(6)
	ds_write2_b64 v0, v[8:9], v[10:11] offset0:12 offset1:210
	s_waitcnt vmcnt(4)
	ds_write2_b64 v1, v[14:15], v[16:17] offset0:24 offset1:222
	;; [unrolled: 2-line block ×3, first 2 shown]
	v_add_u32_e32 v0, 0x3000, v68
	s_waitcnt vmcnt(0)
	ds_write2_b64 v0, v[2:3], v[12:13] offset0:48 offset1:246
.LBB0_11:
	s_or_b64 exec, exec, s[2:3]
	v_add_u32_e32 v4, 0xa00, v68
	v_add_u32_e32 v8, 0x1600, v68
	;; [unrolled: 1-line block ×3, first 2 shown]
	s_waitcnt lgkmcnt(0)
	s_barrier
	ds_read2_b64 v[0:3], v68 offset1:180
	ds_read2_b64 v[4:7], v4 offset0:40 offset1:220
	ds_read2_b64 v[8:11], v8 offset0:16 offset1:196
	ds_read_b64 v[46:47], v68 offset:14400
	ds_read2_b64 v[16:19], v12 offset0:56 offset1:236
	v_add_u32_e32 v12, 0x2c00, v68
	ds_read2_b64 v[12:15], v12 offset0:32 offset1:212
	s_mov_b32 s18, 0xbf0a6770
	s_waitcnt lgkmcnt(2)
	v_pk_add_f32 v[28:29], v[2:3], v[46:47] neg_lo:[0,1] neg_hi:[0,1]
	v_pk_add_f32 v[26:27], v[46:47], v[2:3]
	s_mov_b32 s8, 0x3f575c64
	v_pk_mul_f32 v[24:25], v[28:29], s[18:19] op_sel_hi:[1,0]
	s_waitcnt lgkmcnt(0)
	v_pk_add_f32 v[32:33], v[4:5], v[14:15] neg_lo:[0,1] neg_hi:[0,1]
	s_mov_b32 s24, 0xbf68dda4
	v_pk_fma_f32 v[48:49], v[26:27], s[8:9], v[24:25] op_sel:[0,0,1] op_sel_hi:[1,0,0]
	v_pk_fma_f32 v[50:51], v[26:27], s[8:9], v[24:25] op_sel:[0,0,1] op_sel_hi:[1,0,0] neg_lo:[0,0,1] neg_hi:[0,0,1]
	v_pk_add_f32 v[30:31], v[14:15], v[4:5]
	s_mov_b32 s6, 0x3ed4b147
	v_pk_mul_f32 v[34:35], v[32:33], s[24:25] op_sel_hi:[1,0]
	v_mov_b32_e32 v24, v48
	v_mov_b32_e32 v25, v51
	v_pk_fma_f32 v[52:53], v[30:31], s[6:7], v[34:35] op_sel:[0,0,1] op_sel_hi:[1,0,0]
	v_pk_fma_f32 v[54:55], v[30:31], s[6:7], v[34:35] op_sel:[0,0,1] op_sel_hi:[1,0,0] neg_lo:[0,0,1] neg_hi:[0,0,1]
	v_pk_add_f32 v[24:25], v[0:1], v[24:25]
	v_mov_b32_e32 v34, v52
	v_mov_b32_e32 v35, v55
	v_pk_add_f32 v[36:37], v[6:7], v[12:13] neg_lo:[0,1] neg_hi:[0,1]
	s_mov_b32 s12, 0xbf7d64f0
	v_pk_add_f32 v[24:25], v[34:35], v[24:25]
	v_pk_add_f32 v[34:35], v[12:13], v[6:7]
	s_mov_b32 s10, 0xbe11bafb
	v_pk_mul_f32 v[38:39], v[36:37], s[12:13] op_sel_hi:[1,0]
	v_pk_add_f32 v[40:41], v[8:9], v[18:19] neg_lo:[0,1] neg_hi:[0,1]
	v_pk_fma_f32 v[56:57], v[34:35], s[10:11], v[38:39] op_sel:[0,0,1] op_sel_hi:[1,0,0]
	v_pk_fma_f32 v[58:59], v[34:35], s[10:11], v[38:39] op_sel:[0,0,1] op_sel_hi:[1,0,0] neg_lo:[0,0,1] neg_hi:[0,0,1]
	v_mov_b32_e32 v38, v56
	v_mov_b32_e32 v39, v59
	s_mov_b32 s16, 0xbf4178ce
	v_pk_add_f32 v[24:25], v[38:39], v[24:25]
	v_pk_add_f32 v[38:39], v[18:19], v[8:9]
	s_mov_b32 s14, 0xbf27a4f4
	v_pk_mul_f32 v[42:43], v[40:41], s[16:17] op_sel_hi:[1,0]
	s_mov_b32 s22, 0xbe903f40
	v_pk_fma_f32 v[60:61], v[38:39], s[14:15], v[42:43] op_sel:[0,0,1] op_sel_hi:[1,0,0]
	v_pk_fma_f32 v[62:63], v[38:39], s[14:15], v[42:43] op_sel:[0,0,1] op_sel_hi:[1,0,0] neg_lo:[0,0,1] neg_hi:[0,0,1]
	v_mov_b32_e32 v42, v60
	v_mov_b32_e32 v43, v63
	v_pk_add_f32 v[44:45], v[10:11], v[16:17] neg_lo:[0,1] neg_hi:[0,1]
	v_pk_add_f32 v[24:25], v[42:43], v[24:25]
	s_mov_b32 s20, 0xbf75a155
	v_pk_add_f32 v[42:43], v[16:17], v[10:11]
	v_pk_mul_f32 v[66:67], v[44:45], s[22:23] op_sel_hi:[1,0]
	s_movk_i32 s2, 0xb4
	v_pk_fma_f32 v[64:65], v[42:43], s[20:21], v[66:67] op_sel:[0,0,1] op_sel_hi:[1,0,0]
	v_pk_fma_f32 v[66:67], v[42:43], s[20:21], v[66:67] op_sel:[0,0,1] op_sel_hi:[1,0,0] neg_lo:[0,0,1] neg_hi:[0,0,1]
	v_mov_b32_e32 v70, v64
	v_mov_b32_e32 v71, v67
	v_pk_add_f32 v[24:25], v[70:71], v[24:25]
	v_cmp_gt_u32_e32 vcc, s2, v22
	s_barrier
	s_and_saveexec_b64 s[2:3], vcc
	s_cbranch_execz .LBB0_13
; %bb.12:
	v_pk_add_f32 v[2:3], v[0:1], v[2:3]
	v_mov_b32_e32 v51, v49
	v_pk_add_f32 v[2:3], v[2:3], v[4:5]
	v_pk_add_f32 v[4:5], v[0:1], v[50:51]
	v_pk_add_f32 v[2:3], v[2:3], v[6:7]
	v_mov_b32_e32 v55, v53
	v_pk_add_f32 v[2:3], v[2:3], v[8:9]
	v_pk_add_f32 v[4:5], v[54:55], v[4:5]
	;; [unrolled: 4-line block ×3, first 2 shown]
	v_pk_add_f32 v[2:3], v[2:3], v[18:19]
	v_mov_b32_e32 v63, v61
	v_pk_add_f32 v[2:3], v[2:3], v[12:13]
	s_movk_i32 s7, 0x50
	v_pk_add_f32 v[2:3], v[2:3], v[14:15]
	v_pk_add_f32 v[4:5], v[62:63], v[4:5]
	v_mov_b32_e32 v67, v65
	v_pk_add_f32 v[2:3], v[2:3], v[46:47]
	v_mad_u32_u24 v23, v22, s7, v68
	v_pk_add_f32 v[4:5], v[66:67], v[4:5]
	ds_write2_b64 v23, v[2:3], v[4:5] offset1:1
	v_pk_mul_f32 v[2:3], v[28:29], s[24:25] op_sel_hi:[1,0]
	v_pk_mul_f32 v[8:9], v[32:33], s[16:17] op_sel_hi:[1,0]
	v_pk_fma_f32 v[4:5], v[26:27], s[6:7], v[2:3] op_sel:[0,0,1] op_sel_hi:[1,0,0] neg_lo:[0,0,1] neg_hi:[0,0,1]
	v_pk_fma_f32 v[2:3], v[26:27], s[6:7], v[2:3] op_sel:[0,0,1] op_sel_hi:[1,0,0]
	v_mov_b32_e32 v6, v4
	v_mov_b32_e32 v7, v3
	v_pk_fma_f32 v[10:11], v[30:31], s[14:15], v[8:9] op_sel:[0,0,1] op_sel_hi:[1,0,0] neg_lo:[0,0,1] neg_hi:[0,0,1]
	v_pk_fma_f32 v[8:9], v[30:31], s[14:15], v[8:9] op_sel:[0,0,1] op_sel_hi:[1,0,0]
	v_pk_add_f32 v[6:7], v[0:1], v[6:7]
	v_mov_b32_e32 v12, v10
	v_mov_b32_e32 v13, v9
	s_mov_b32 s24, 0x3e903f40
	v_pk_add_f32 v[6:7], v[12:13], v[6:7]
	v_pk_mul_f32 v[12:13], v[36:37], s[24:25] op_sel_hi:[1,0]
	s_mov_b32 s26, 0x3f7d64f0
	v_pk_fma_f32 v[14:15], v[34:35], s[20:21], v[12:13] op_sel:[0,0,1] op_sel_hi:[1,0,0] neg_lo:[0,0,1] neg_hi:[0,0,1]
	v_pk_fma_f32 v[12:13], v[34:35], s[20:21], v[12:13] op_sel:[0,0,1] op_sel_hi:[1,0,0]
	v_mov_b32_e32 v16, v14
	v_mov_b32_e32 v17, v13
	v_pk_add_f32 v[6:7], v[16:17], v[6:7]
	v_pk_mul_f32 v[16:17], v[40:41], s[26:27] op_sel_hi:[1,0]
	s_mov_b32 s28, 0x3f0a6770
	v_pk_fma_f32 v[18:19], v[38:39], s[10:11], v[16:17] op_sel:[0,0,1] op_sel_hi:[1,0,0] neg_lo:[0,0,1] neg_hi:[0,0,1]
	v_pk_fma_f32 v[16:17], v[38:39], s[10:11], v[16:17] op_sel:[0,0,1] op_sel_hi:[1,0,0]
	v_mov_b32_e32 v46, v18
	v_mov_b32_e32 v47, v17
	v_pk_add_f32 v[6:7], v[46:47], v[6:7]
	v_pk_mul_f32 v[46:47], v[44:45], s[28:29] op_sel_hi:[1,0]
	v_pk_mul_f32 v[56:57], v[32:33], s[24:25] op_sel_hi:[1,0]
	v_pk_fma_f32 v[48:49], v[42:43], s[8:9], v[46:47] op_sel:[0,0,1] op_sel_hi:[1,0,0] neg_lo:[0,0,1] neg_hi:[0,0,1]
	v_pk_fma_f32 v[46:47], v[42:43], s[8:9], v[46:47] op_sel:[0,0,1] op_sel_hi:[1,0,0]
	v_mov_b32_e32 v50, v48
	v_mov_b32_e32 v51, v47
	v_pk_add_f32 v[6:7], v[50:51], v[6:7]
	v_pk_mul_f32 v[50:51], v[28:29], s[12:13] op_sel_hi:[1,0]
	v_pk_fma_f32 v[58:59], v[30:31], s[20:21], v[56:57] op_sel:[0,0,1] op_sel_hi:[1,0,0] neg_lo:[0,0,1] neg_hi:[0,0,1]
	v_pk_fma_f32 v[52:53], v[26:27], s[10:11], v[50:51] op_sel:[0,0,1] op_sel_hi:[1,0,0] neg_lo:[0,0,1] neg_hi:[0,0,1]
	v_pk_fma_f32 v[50:51], v[26:27], s[10:11], v[50:51] op_sel:[0,0,1] op_sel_hi:[1,0,0]
	v_mov_b32_e32 v54, v52
	v_mov_b32_e32 v55, v51
	v_pk_fma_f32 v[56:57], v[30:31], s[20:21], v[56:57] op_sel:[0,0,1] op_sel_hi:[1,0,0]
	v_pk_add_f32 v[54:55], v[0:1], v[54:55]
	v_mov_b32_e32 v60, v58
	v_mov_b32_e32 v61, v57
	s_mov_b32 s24, 0x3f68dda4
	v_pk_add_f32 v[54:55], v[60:61], v[54:55]
	v_pk_mul_f32 v[60:61], v[36:37], s[24:25] op_sel_hi:[1,0]
	v_pk_mul_f32 v[76:77], v[32:33], s[26:27] op_sel_hi:[1,0]
	v_pk_fma_f32 v[62:63], v[34:35], s[6:7], v[60:61] op_sel:[0,0,1] op_sel_hi:[1,0,0] neg_lo:[0,0,1] neg_hi:[0,0,1]
	v_pk_fma_f32 v[60:61], v[34:35], s[6:7], v[60:61] op_sel:[0,0,1] op_sel_hi:[1,0,0]
	v_mov_b32_e32 v64, v62
	v_mov_b32_e32 v65, v61
	v_pk_add_f32 v[54:55], v[64:65], v[54:55]
	v_pk_mul_f32 v[64:65], v[40:41], s[18:19] op_sel_hi:[1,0]
	v_pk_fma_f32 v[78:79], v[30:31], s[10:11], v[76:77] op_sel:[0,0,1] op_sel_hi:[1,0,0] neg_lo:[0,0,1] neg_hi:[0,0,1]
	v_pk_fma_f32 v[66:67], v[38:39], s[8:9], v[64:65] op_sel:[0,0,1] op_sel_hi:[1,0,0] neg_lo:[0,0,1] neg_hi:[0,0,1]
	v_pk_fma_f32 v[64:65], v[38:39], s[8:9], v[64:65] op_sel:[0,0,1] op_sel_hi:[1,0,0]
	v_mov_b32_e32 v70, v66
	v_mov_b32_e32 v71, v65
	v_pk_add_f32 v[54:55], v[70:71], v[54:55]
	v_pk_mul_f32 v[70:71], v[44:45], s[16:17] op_sel_hi:[1,0]
	v_pk_fma_f32 v[76:77], v[30:31], s[10:11], v[76:77] op_sel:[0,0,1] op_sel_hi:[1,0,0]
	v_pk_fma_f32 v[72:73], v[42:43], s[14:15], v[70:71] op_sel:[0,0,1] op_sel_hi:[1,0,0] neg_lo:[0,0,1] neg_hi:[0,0,1]
	v_pk_fma_f32 v[70:71], v[42:43], s[14:15], v[70:71] op_sel:[0,0,1] op_sel_hi:[1,0,0]
	v_mov_b32_e32 v74, v72
	v_mov_b32_e32 v75, v71
	v_pk_add_f32 v[54:55], v[74:75], v[54:55]
	ds_write2_b64 v23, v[6:7], v[54:55] offset0:2 offset1:3
	v_pk_mul_f32 v[6:7], v[28:29], s[16:17] op_sel_hi:[1,0]
	v_mov_b32_e32 v80, v78
	v_pk_fma_f32 v[54:55], v[26:27], s[14:15], v[6:7] op_sel:[0,0,1] op_sel_hi:[1,0,0] neg_lo:[0,0,1] neg_hi:[0,0,1]
	v_pk_fma_f32 v[6:7], v[26:27], s[14:15], v[6:7] op_sel:[0,0,1] op_sel_hi:[1,0,0]
	v_mov_b32_e32 v74, v54
	v_mov_b32_e32 v75, v7
	v_pk_add_f32 v[74:75], v[0:1], v[74:75]
	v_mov_b32_e32 v81, v77
	v_pk_add_f32 v[74:75], v[80:81], v[74:75]
	v_pk_mul_f32 v[80:81], v[36:37], s[18:19] op_sel_hi:[1,0]
	v_pk_mul_f32 v[28:29], v[28:29], s[22:23] op_sel_hi:[1,0]
	v_pk_fma_f32 v[82:83], v[34:35], s[8:9], v[80:81] op_sel:[0,0,1] op_sel_hi:[1,0,0] neg_lo:[0,0,1] neg_hi:[0,0,1]
	v_pk_fma_f32 v[80:81], v[34:35], s[8:9], v[80:81] op_sel:[0,0,1] op_sel_hi:[1,0,0]
	v_mov_b32_e32 v84, v82
	v_mov_b32_e32 v85, v81
	v_pk_add_f32 v[74:75], v[84:85], v[74:75]
	v_pk_mul_f32 v[84:85], v[40:41], s[22:23] op_sel_hi:[1,0]
	v_pk_mul_f32 v[36:37], v[36:37], s[16:17] op_sel_hi:[1,0]
	v_pk_fma_f32 v[86:87], v[38:39], s[20:21], v[84:85] op_sel:[0,0,1] op_sel_hi:[1,0,0] neg_lo:[0,0,1] neg_hi:[0,0,1]
	v_pk_fma_f32 v[84:85], v[38:39], s[20:21], v[84:85] op_sel:[0,0,1] op_sel_hi:[1,0,0]
	v_mov_b32_e32 v88, v86
	v_mov_b32_e32 v89, v85
	v_pk_add_f32 v[74:75], v[88:89], v[74:75]
	v_pk_mul_f32 v[88:89], v[44:45], s[24:25] op_sel_hi:[1,0]
	v_mov_b32_e32 v7, v55
	v_pk_fma_f32 v[90:91], v[42:43], s[6:7], v[88:89] op_sel:[0,0,1] op_sel_hi:[1,0,0] neg_lo:[0,0,1] neg_hi:[0,0,1]
	v_pk_fma_f32 v[88:89], v[42:43], s[6:7], v[88:89] op_sel:[0,0,1] op_sel_hi:[1,0,0]
	v_mov_b32_e32 v92, v90
	v_mov_b32_e32 v93, v89
	v_pk_add_f32 v[74:75], v[92:93], v[74:75]
	v_pk_fma_f32 v[92:93], v[26:27], s[20:21], v[28:29] op_sel:[0,0,1] op_sel_hi:[1,0,0] neg_lo:[0,0,1] neg_hi:[0,0,1]
	v_pk_fma_f32 v[26:27], v[26:27], s[20:21], v[28:29] op_sel:[0,0,1] op_sel_hi:[1,0,0]
	v_pk_mul_f32 v[28:29], v[32:33], s[28:29] op_sel_hi:[1,0]
	v_mov_b32_e32 v77, v79
	v_pk_fma_f32 v[32:33], v[30:31], s[8:9], v[28:29] op_sel:[0,0,1] op_sel_hi:[1,0,0] neg_lo:[0,0,1] neg_hi:[0,0,1]
	v_pk_fma_f32 v[28:29], v[30:31], s[8:9], v[28:29] op_sel:[0,0,1] op_sel_hi:[1,0,0]
	v_mov_b32_e32 v30, v92
	v_mov_b32_e32 v31, v27
	v_pk_add_f32 v[30:31], v[0:1], v[30:31]
	v_mov_b32_e32 v94, v32
	v_mov_b32_e32 v95, v29
	v_pk_add_f32 v[30:31], v[94:95], v[30:31]
	v_pk_fma_f32 v[94:95], v[34:35], s[14:15], v[36:37] op_sel:[0,0,1] op_sel_hi:[1,0,0] neg_lo:[0,0,1] neg_hi:[0,0,1]
	v_pk_fma_f32 v[34:35], v[34:35], s[14:15], v[36:37] op_sel:[0,0,1] op_sel_hi:[1,0,0]
	v_mov_b32_e32 v36, v94
	v_mov_b32_e32 v37, v35
	v_pk_add_f32 v[30:31], v[36:37], v[30:31]
	v_pk_mul_f32 v[36:37], v[40:41], s[24:25] op_sel_hi:[1,0]
	v_mov_b32_e32 v27, v93
	v_pk_fma_f32 v[40:41], v[38:39], s[6:7], v[36:37] op_sel:[0,0,1] op_sel_hi:[1,0,0] neg_lo:[0,0,1] neg_hi:[0,0,1]
	v_pk_fma_f32 v[36:37], v[38:39], s[6:7], v[36:37] op_sel:[0,0,1] op_sel_hi:[1,0,0]
	v_mov_b32_e32 v38, v40
	v_mov_b32_e32 v39, v37
	;; [unrolled: 1-line block ×3, first 2 shown]
	v_pk_add_f32 v[26:27], v[0:1], v[26:27]
	v_pk_add_f32 v[6:7], v[0:1], v[6:7]
	v_pk_add_f32 v[30:31], v[38:39], v[30:31]
	v_pk_mul_f32 v[38:39], v[44:45], s[12:13] op_sel_hi:[1,0]
	v_pk_add_f32 v[26:27], v[28:29], v[26:27]
	v_mov_b32_e32 v35, v95
	v_pk_add_f32 v[6:7], v[76:77], v[6:7]
	v_mov_b32_e32 v81, v83
	v_pk_fma_f32 v[44:45], v[42:43], s[10:11], v[38:39] op_sel:[0,0,1] op_sel_hi:[1,0,0] neg_lo:[0,0,1] neg_hi:[0,0,1]
	v_pk_fma_f32 v[38:39], v[42:43], s[10:11], v[38:39] op_sel:[0,0,1] op_sel_hi:[1,0,0]
	v_pk_add_f32 v[26:27], v[34:35], v[26:27]
	v_mov_b32_e32 v37, v41
	v_pk_add_f32 v[6:7], v[80:81], v[6:7]
	v_mov_b32_e32 v85, v87
	v_mov_b32_e32 v43, v39
	v_pk_add_f32 v[26:27], v[36:37], v[26:27]
	v_mov_b32_e32 v39, v45
	v_pk_add_f32 v[6:7], v[84:85], v[6:7]
	;; [unrolled: 2-line block ×3, first 2 shown]
	v_pk_add_f32 v[6:7], v[88:89], v[6:7]
	v_mov_b32_e32 v51, v53
	v_mov_b32_e32 v3, v5
	ds_write2_b64 v23, v[26:27], v[6:7] offset0:6 offset1:7
	v_pk_add_f32 v[6:7], v[0:1], v[50:51]
	v_mov_b32_e32 v57, v59
	v_pk_add_f32 v[0:1], v[0:1], v[2:3]
	v_mov_b32_e32 v9, v11
	;; [unrolled: 2-line block ×6, first 2 shown]
	v_mov_b32_e32 v42, v44
	v_pk_add_f32 v[6:7], v[64:65], v[6:7]
	v_mov_b32_e32 v71, v73
	v_pk_add_f32 v[0:1], v[16:17], v[0:1]
	;; [unrolled: 2-line block ×3, first 2 shown]
	v_pk_add_f32 v[6:7], v[70:71], v[6:7]
	v_pk_add_f32 v[0:1], v[46:47], v[0:1]
	ds_write2_b64 v23, v[74:75], v[30:31] offset0:4 offset1:5
	ds_write2_b64 v23, v[6:7], v[0:1] offset0:8 offset1:9
	ds_write_b64 v23, v[24:25] offset:80
.LBB0_13:
	s_or_b64 exec, exec, s[2:3]
	v_add_u32_e32 v0, 0x318, v22
	s_mov_b32 s2, 0xba2f
	v_add_u32_e32 v13, 0xc6, v22
	v_mul_u32_u24_sdwa v2, v0, s2 dst_sel:DWORD dst_unused:UNUSED_PAD src0_sel:WORD_0 src1_sel:DWORD
	v_add_u32_e32 v14, 0x18c, v22
	v_mul_u32_u24_sdwa v23, v13, s2 dst_sel:DWORD dst_unused:UNUSED_PAD src0_sel:WORD_0 src1_sel:DWORD
	v_lshrrev_b32_e32 v37, 19, v2
	v_add_u32_e32 v12, 0x252, v22
	v_lshrrev_b32_e32 v32, 19, v23
	v_mul_lo_u16_e32 v2, 11, v37
	v_mul_u32_u24_sdwa v33, v14, s2 dst_sel:DWORD dst_unused:UNUSED_PAD src0_sel:WORD_0 src1_sel:DWORD
	v_mul_lo_u16_e32 v1, 11, v32
	v_sub_u16_e32 v0, v0, v2
	v_lshrrev_b32_e32 v48, 19, v33
	v_mul_u32_u24_sdwa v36, v12, s2 dst_sel:DWORD dst_unused:UNUSED_PAD src0_sel:WORD_0 src1_sel:DWORD
	v_sub_u16_e32 v1, v13, v1
	v_lshlrev_b32_e32 v46, 3, v0
	v_mul_lo_u16_e32 v0, 11, v48
	v_lshrrev_b32_e32 v49, 19, v36
	v_lshlrev_b32_e32 v47, 3, v1
	v_sub_u16_e32 v0, v14, v0
	v_mul_lo_u16_e32 v1, 11, v49
	s_movk_i32 s2, 0x75
	v_sub_u16_e32 v1, v12, v1
	v_lshlrev_b32_e32 v50, 3, v0
	v_mul_lo_u16_sdwa v0, v22, s2 dst_sel:DWORD dst_unused:UNUSED_PAD src0_sel:BYTE_0 src1_sel:DWORD
	v_lshlrev_b32_e32 v51, 3, v1
	v_sub_u16_sdwa v1, v22, v0 dst_sel:DWORD dst_unused:UNUSED_PAD src0_sel:DWORD src1_sel:BYTE_1
	v_lshrrev_b16_e32 v1, 1, v1
	v_and_b32_e32 v1, 0x7f, v1
	v_add_u16_sdwa v0, v1, v0 dst_sel:DWORD dst_unused:UNUSED_PAD src0_sel:DWORD src1_sel:BYTE_1
	v_lshrrev_b16_e32 v52, 3, v0
	s_waitcnt lgkmcnt(0)
	s_barrier
	global_load_dwordx2 v[26:27], v46, s[4:5]
	global_load_dwordx2 v[28:29], v51, s[4:5]
	;; [unrolled: 1-line block ×4, first 2 shown]
	v_mul_lo_u16_e32 v0, 11, v52
	v_sub_u16_e32 v0, v22, v0
	v_mov_b32_e32 v15, 3
	v_lshlrev_b32_sdwa v53, v15, v0 dst_sel:DWORD dst_unused:UNUSED_PAD src0_sel:DWORD src1_sel:BYTE_0
	global_load_dwordx2 v[40:41], v53, s[4:5]
	v_add_u32_e32 v4, 0x1800, v68
	v_add_u32_e32 v8, 0x2400, v68
	ds_read2_b64 v[0:3], v68 offset1:198
	ds_read2_b64 v[4:7], v4 offset0:24 offset1:222
	ds_read2_b64 v[8:11], v8 offset0:36 offset1:234
	v_add_u32_e32 v16, 0x3000, v68
	s_mov_b32 s3, 0x5040100
	s_movk_i32 s2, 0xb0
	v_lshl_add_u32 v35, v14, 3, 0
	v_lshl_add_u32 v34, v12, 3, 0
	ds_read2_b64 v[16:19], v16 offset0:48 offset1:246
	ds_read_b64 v[42:43], v34
	ds_read_b64 v[44:45], v35
	v_perm_b32 v48, v49, v48, s3
	v_mul_u32_u24_e32 v37, 0xb0, v37
	v_pk_mul_lo_u16 v48, v48, s2 op_sel_hi:[1,0]
	v_mul_u32_u24_e32 v32, 0xb0, v32
	v_and_b32_e32 v49, 0xfff0, v48
	v_lshrrev_b32_e32 v48, 16, v48
	v_add3_u32 v37, 0, v37, v46
	v_mul_u32_u24_e32 v46, 0xb0, v52
	v_add3_u32 v32, 0, v32, v47
	v_add3_u32 v56, 0, v49, v50
	;; [unrolled: 1-line block ×4, first 2 shown]
	s_waitcnt lgkmcnt(0)
	s_barrier
	s_movk_i32 s2, 0x42
	v_cmp_gt_u32_e32 vcc, s2, v22
	s_waitcnt vmcnt(3)
	v_pk_mul_f32 v[48:49], v[28:29], v[16:17] op_sel:[0,1]
	v_pk_mul_f32 v[46:47], v[26:27], v[18:19] op_sel:[0,1]
	s_waitcnt vmcnt(2)
	v_pk_mul_f32 v[50:51], v[30:31], v[10:11] op_sel:[0,1]
	s_waitcnt vmcnt(1)
	v_pk_mul_f32 v[52:53], v[38:39], v[8:9] op_sel:[0,1]
	v_pk_fma_f32 v[54:55], v[26:27], v[18:19], v[46:47] op_sel:[0,0,1] op_sel_hi:[1,1,0] neg_lo:[0,0,1] neg_hi:[0,0,1]
	v_pk_fma_f32 v[18:19], v[26:27], v[18:19], v[46:47] op_sel:[0,0,1] op_sel_hi:[1,0,0]
	v_pk_fma_f32 v[26:27], v[28:29], v[16:17], v[48:49] op_sel:[0,0,1] op_sel_hi:[1,1,0] neg_lo:[0,0,1] neg_hi:[0,0,1]
	v_pk_fma_f32 v[16:17], v[28:29], v[16:17], v[48:49] op_sel:[0,0,1] op_sel_hi:[1,0,0]
	;; [unrolled: 2-line block ×4, first 2 shown]
	v_mov_b32_e32 v29, v11
	v_mov_b32_e32 v31, v9
	v_pk_add_f32 v[10:11], v[44:45], v[28:29] neg_lo:[0,1] neg_hi:[0,1]
	v_pk_add_f32 v[28:29], v[2:3], v[30:31] neg_lo:[0,1] neg_hi:[0,1]
	s_waitcnt vmcnt(0)
	v_pk_mul_f32 v[30:31], v[40:41], v[6:7] op_sel:[0,1]
	v_mov_b32_e32 v55, v19
	v_pk_fma_f32 v[38:39], v[40:41], v[6:7], v[30:31] op_sel:[0,0,1] op_sel_hi:[1,1,0] neg_lo:[0,0,1] neg_hi:[0,0,1]
	v_pk_fma_f32 v[6:7], v[40:41], v[6:7], v[30:31] op_sel:[0,0,1] op_sel_hi:[1,0,0]
	v_mov_b32_e32 v27, v17
	v_mov_b32_e32 v39, v7
	v_pk_add_f32 v[18:19], v[4:5], v[54:55] neg_lo:[0,1] neg_hi:[0,1]
	v_pk_add_f32 v[6:7], v[0:1], v[38:39] neg_lo:[0,1] neg_hi:[0,1]
	;; [unrolled: 1-line block ×3, first 2 shown]
	v_pk_fma_f32 v[4:5], v[4:5], 2.0, v[18:19] op_sel_hi:[1,0,1] neg_lo:[0,0,1] neg_hi:[0,0,1]
	v_pk_fma_f32 v[0:1], v[0:1], 2.0, v[6:7] op_sel_hi:[1,0,1] neg_lo:[0,0,1] neg_hi:[0,0,1]
	;; [unrolled: 1-line block ×5, first 2 shown]
	ds_write2_b64 v58, v[0:1], v[6:7] offset1:11
	ds_write2_b64 v32, v[2:3], v[28:29] offset1:11
	;; [unrolled: 1-line block ×5, first 2 shown]
	v_add_u32_e32 v4, 0x1400, v68
	v_add_u32_e32 v8, 0x2800, v68
	s_waitcnt lgkmcnt(0)
	s_barrier
	ds_read2_b64 v[0:3], v68 offset1:198
	ds_read2_b64 v[4:7], v4 offset0:20 offset1:218
	ds_read2_b64 v[8:11], v8 offset0:40 offset1:238
	ds_read_b64 v[28:29], v35
	ds_read_b64 v[26:27], v68 offset:8448
	ds_read_b64 v[16:17], v68 offset:13728
                                        ; implicit-def: $vgpr30
                                        ; implicit-def: $vgpr32
	s_and_saveexec_b64 s[2:3], vcc
	s_cbranch_execz .LBB0_15
; %bb.14:
	ds_read_b64 v[30:31], v68 offset:15312
	ds_read_b64 v[18:19], v34
	ds_read_b64 v[24:25], v68 offset:10032
	s_waitcnt lgkmcnt(2)
	v_mov_b32_e32 v32, v31
.LBB0_15:
	s_or_b64 exec, exec, s[2:3]
	v_lshrrev_b32_e32 v53, 20, v23
	v_mul_lo_u16_e32 v23, 22, v53
	v_lshrrev_b32_e32 v33, 20, v33
	v_sub_u16_e32 v54, v13, v23
	v_mul_lo_u16_e32 v23, 22, v33
	v_lshrrev_b16_e32 v48, 1, v22
	v_sub_u16_e32 v55, v14, v23
	v_lshrrev_b32_e32 v23, 20, v36
	v_and_b32_e32 v48, 0x7f, v48
	v_mul_lo_u16_e32 v31, 22, v23
	v_mul_lo_u16_e32 v48, 0xbb, v48
	v_sub_u16_e32 v31, v12, v31
	v_lshrrev_b16_e32 v56, 11, v48
	v_lshlrev_b32_e32 v36, 4, v31
	v_mul_lo_u16_e32 v48, 22, v56
	global_load_dwordx4 v[36:39], v36, s[4:5] offset:88
	v_lshlrev_b32_e32 v40, 4, v55
	global_load_dwordx4 v[40:43], v40, s[4:5] offset:88
	v_lshlrev_b32_e32 v44, 4, v54
	v_mov_b32_e32 v49, 4
	v_sub_u16_e32 v57, v22, v48
	global_load_dwordx4 v[44:47], v44, s[4:5] offset:88
	v_lshlrev_b32_sdwa v48, v49, v57 dst_sel:DWORD dst_unused:UNUSED_PAD src0_sel:DWORD src1_sel:BYTE_0
	global_load_dwordx4 v[48:51], v48, s[4:5] offset:88
	s_waitcnt lgkmcnt(0)
	v_mov_b32_e32 v52, v25
	v_mul_u32_u24_e32 v25, 0x210, v53
	v_mul_u32_u24_e32 v33, 0x210, v33
	v_lshlrev_b32_e32 v53, 3, v54
	v_lshlrev_b32_e32 v54, 3, v55
	v_mul_u32_u24_e32 v55, 0x210, v56
	v_add3_u32 v64, 0, v25, v53
	v_add3_u32 v65, 0, v33, v54
	v_lshlrev_b32_sdwa v15, v15, v57 dst_sel:DWORD dst_unused:UNUSED_PAD src0_sel:DWORD src1_sel:BYTE_0
	v_add3_u32 v15, 0, v55, v15
	s_mov_b32 s2, 0x3f5db3d7
	s_barrier
	s_waitcnt vmcnt(3)
	v_pk_mul_f32 v[52:53], v[52:53], v[36:37] op_sel_hi:[0,1]
	v_pk_mul_f32 v[32:33], v[32:33], v[38:39] op_sel_hi:[0,1]
	s_waitcnt vmcnt(2)
	v_pk_mul_f32 v[54:55], v[40:41], v[26:27] op_sel:[0,1]
	v_pk_mul_f32 v[56:57], v[42:43], v[16:17] op_sel:[0,1]
	v_pk_fma_f32 v[62:63], v[24:25], v[36:37], v[52:53] op_sel:[0,0,1] op_sel_hi:[1,1,0] neg_lo:[0,0,1] neg_hi:[0,0,1]
	v_pk_fma_f32 v[24:25], v[24:25], v[36:37], v[52:53] op_sel:[0,0,1] op_sel_hi:[0,1,0]
	s_waitcnt vmcnt(1)
	v_pk_mul_f32 v[58:59], v[44:45], v[6:7] op_sel:[0,1]
	v_pk_mul_f32 v[60:61], v[46:47], v[10:11] op_sel:[0,1]
	v_pk_fma_f32 v[36:37], v[30:31], v[38:39], v[32:33] op_sel:[0,0,1] op_sel_hi:[1,1,0] neg_lo:[0,0,1] neg_hi:[0,0,1]
	v_pk_fma_f32 v[32:33], v[30:31], v[38:39], v[32:33] op_sel:[0,0,1] op_sel_hi:[0,1,0]
	v_pk_fma_f32 v[38:39], v[40:41], v[26:27], v[54:55] op_sel:[0,0,1] op_sel_hi:[1,1,0] neg_lo:[0,0,1] neg_hi:[0,0,1]
	v_pk_fma_f32 v[26:27], v[40:41], v[26:27], v[54:55] op_sel:[0,0,1] op_sel_hi:[1,0,0]
	;; [unrolled: 2-line block ×5, first 2 shown]
	v_mov_b32_e32 v63, v25
	v_mov_b32_e32 v37, v33
	s_waitcnt vmcnt(0)
	v_pk_mul_f32 v[46:47], v[48:49], v[4:5] op_sel:[0,1]
	v_pk_mul_f32 v[52:53], v[50:51], v[8:9] op_sel:[0,1]
	v_mov_b32_e32 v39, v27
	v_mov_b32_e32 v43, v7
	;; [unrolled: 1-line block ×3, first 2 shown]
	v_pk_add_f32 v[6:7], v[18:19], v[62:63]
	v_pk_add_f32 v[10:11], v[62:63], v[36:37]
	v_pk_add_f32 v[24:25], v[62:63], v[36:37] neg_lo:[0,1] neg_hi:[0,1]
	v_pk_fma_f32 v[54:55], v[48:49], v[4:5], v[46:47] op_sel:[0,0,1] op_sel_hi:[1,1,0] neg_lo:[0,0,1] neg_hi:[0,0,1]
	v_pk_fma_f32 v[4:5], v[48:49], v[4:5], v[46:47] op_sel:[0,0,1] op_sel_hi:[1,0,0]
	v_pk_fma_f32 v[46:47], v[50:51], v[8:9], v[52:53] op_sel:[0,0,1] op_sel_hi:[1,1,0] neg_lo:[0,0,1] neg_hi:[0,0,1]
	v_pk_fma_f32 v[8:9], v[50:51], v[8:9], v[52:53] op_sel:[0,0,1] op_sel_hi:[1,0,0]
	v_mov_b32_e32 v41, v17
	v_pk_add_f32 v[26:27], v[28:29], v[38:39]
	v_pk_add_f32 v[16:17], v[6:7], v[36:37]
	v_pk_fma_f32 v[6:7], v[10:11], 0.5, v[18:19] op_sel_hi:[1,0,1] neg_lo:[1,0,0] neg_hi:[1,0,0]
	v_pk_mul_f32 v[10:11], v[24:25], s[2:3] op_sel_hi:[1,0]
	v_mov_b32_e32 v55, v5
	v_mov_b32_e32 v47, v9
	v_pk_add_f32 v[36:37], v[26:27], v[40:41]
	v_pk_add_f32 v[24:25], v[6:7], v[10:11] op_sel:[0,1] op_sel_hi:[1,0]
	v_pk_add_f32 v[26:27], v[6:7], v[10:11] op_sel:[0,1] op_sel_hi:[1,0] neg_lo:[0,1] neg_hi:[0,1]
	v_pk_add_f32 v[6:7], v[54:55], v[46:47]
	v_pk_add_f32 v[8:9], v[54:55], v[46:47] neg_lo:[0,1] neg_hi:[0,1]
	v_pk_add_f32 v[4:5], v[0:1], v[54:55]
	v_pk_fma_f32 v[0:1], v[6:7], 0.5, v[0:1] op_sel_hi:[1,0,1] neg_lo:[1,0,0] neg_hi:[1,0,0]
	v_pk_mul_f32 v[6:7], v[8:9], s[2:3] op_sel_hi:[1,0]
	v_pk_add_f32 v[32:33], v[2:3], v[42:43]
	v_pk_add_f32 v[8:9], v[0:1], v[6:7] op_sel:[0,1] op_sel_hi:[1,0]
	v_pk_add_f32 v[0:1], v[0:1], v[6:7] op_sel:[0,1] op_sel_hi:[1,0] neg_lo:[0,1] neg_hi:[0,1]
	v_pk_add_f32 v[4:5], v[4:5], v[46:47]
	v_mov_b32_e32 v7, v1
	v_mov_b32_e32 v1, v9
	ds_write_b64 v15, v[0:1] offset:352
	v_pk_add_f32 v[0:1], v[42:43], v[44:45]
	v_mov_b32_e32 v6, v8
	v_pk_fma_f32 v[0:1], v[0:1], 0.5, v[2:3] op_sel_hi:[1,0,1] neg_lo:[1,0,0] neg_hi:[1,0,0]
	v_pk_add_f32 v[2:3], v[42:43], v[44:45] neg_lo:[0,1] neg_hi:[0,1]
	ds_write2_b64 v15, v[4:5], v[6:7] offset1:22
	v_pk_mul_f32 v[2:3], v[2:3], s[2:3] op_sel_hi:[1,0]
	v_pk_add_f32 v[32:33], v[32:33], v[44:45]
	v_pk_add_f32 v[4:5], v[0:1], v[2:3] op_sel:[0,1] op_sel_hi:[1,0]
	v_pk_add_f32 v[0:1], v[0:1], v[2:3] op_sel:[0,1] op_sel_hi:[1,0] neg_lo:[0,1] neg_hi:[0,1]
	v_mov_b32_e32 v2, v4
	v_mov_b32_e32 v3, v1
	;; [unrolled: 1-line block ×3, first 2 shown]
	ds_write2_b64 v64, v[32:33], v[2:3] offset1:22
	ds_write_b64 v64, v[0:1] offset:352
	v_pk_add_f32 v[0:1], v[38:39], v[40:41]
	v_pk_add_f32 v[2:3], v[38:39], v[40:41] neg_lo:[0,1] neg_hi:[0,1]
	v_pk_fma_f32 v[0:1], v[0:1], 0.5, v[28:29] op_sel_hi:[1,0,1] neg_lo:[1,0,0] neg_hi:[1,0,0]
	v_pk_mul_f32 v[2:3], v[2:3], s[2:3] op_sel_hi:[1,0]
	v_mov_b32_e32 v18, v26
	v_pk_add_f32 v[4:5], v[0:1], v[2:3] op_sel:[0,1] op_sel_hi:[1,0]
	v_pk_add_f32 v[0:1], v[0:1], v[2:3] op_sel:[0,1] op_sel_hi:[1,0] neg_lo:[0,1] neg_hi:[0,1]
	v_mov_b32_e32 v19, v25
	v_mov_b32_e32 v2, v4
	;; [unrolled: 1-line block ×4, first 2 shown]
	ds_write2_b64 v65, v[36:37], v[2:3] offset1:22
	ds_write_b64 v65, v[0:1] offset:352
	s_and_saveexec_b64 s[2:3], vcc
	s_cbranch_execz .LBB0_17
; %bb.16:
	v_mul_lo_u16_e32 v0, 0x42, v23
	v_lshlrev_b32_e32 v1, 3, v31
	v_lshlrev_b32_e32 v0, 3, v0
	v_add3_u32 v0, 0, v1, v0
	v_mov_b32_e32 v25, v27
	ds_write2_b64 v0, v[16:17], v[24:25] offset1:22
	ds_write_b64 v0, v[18:19] offset:352
.LBB0_17:
	s_or_b64 exec, exec, s[2:3]
	v_add_u32_e32 v4, 0x1400, v68
	v_add_u32_e32 v8, 0x2800, v68
	s_waitcnt lgkmcnt(0)
	s_barrier
	ds_read2_b64 v[0:3], v68 offset1:198
	ds_read2_b64 v[4:7], v4 offset0:20 offset1:218
	ds_read2_b64 v[8:11], v8 offset0:40 offset1:238
	ds_read_b64 v[28:29], v35
	ds_read_b64 v[32:33], v68 offset:8448
	ds_read_b64 v[30:31], v68 offset:13728
	s_and_saveexec_b64 s[2:3], vcc
	s_cbranch_execz .LBB0_19
; %bb.18:
	ds_read_b64 v[16:17], v34
	ds_read_b64 v[26:27], v68 offset:10032
	ds_read_b64 v[18:19], v68 offset:15312
	s_waitcnt lgkmcnt(1)
	v_mov_b32_e32 v24, v26
.LBB0_19:
	s_or_b64 exec, exec, s[2:3]
	s_mov_b32 s3, 0xf83f
	v_mul_u32_u24_sdwa v26, v13, s3 dst_sel:DWORD dst_unused:UNUSED_PAD src0_sel:WORD_0 src1_sel:DWORD
	v_lshrrev_b32_e32 v26, 22, v26
	s_movk_i32 s2, 0xf9
	v_mul_lo_u16_e32 v36, 0x42, v26
	v_mul_lo_u16_sdwa v15, v22, s2 dst_sel:DWORD dst_unused:UNUSED_PAD src0_sel:BYTE_0 src1_sel:DWORD
	v_sub_u16_e32 v13, v13, v36
	v_mul_u32_u24_sdwa v36, v14, s3 dst_sel:DWORD dst_unused:UNUSED_PAD src0_sel:WORD_0 src1_sel:DWORD
	v_lshrrev_b16_e32 v15, 14, v15
	v_lshrrev_b32_e32 v48, 22, v36
	v_mul_lo_u16_e32 v23, 0x42, v15
	v_mul_lo_u16_e32 v36, 0x42, v48
	v_sub_u16_e32 v23, v22, v23
	v_mov_b32_e32 v25, 4
	v_sub_u16_e32 v49, v14, v36
	v_lshlrev_b32_e32 v36, 4, v49
	v_lshlrev_b32_e32 v40, 4, v13
	v_lshlrev_b32_sdwa v25, v25, v23 dst_sel:DWORD dst_unused:UNUSED_PAD src0_sel:DWORD src1_sel:BYTE_0
	global_load_dwordx4 v[36:39], v36, s[4:5] offset:440
	v_mul_u32_u24_e32 v15, 0x630, v15
	global_load_dwordx4 v[44:47], v25, s[4:5] offset:440
	v_mov_b32_e32 v25, 3
	global_load_dwordx4 v[40:43], v40, s[4:5] offset:440
	v_mul_u32_u24_e32 v48, 0x630, v48
	v_lshlrev_b32_sdwa v23, v25, v23 dst_sel:DWORD dst_unused:UNUSED_PAD src0_sel:DWORD src1_sel:BYTE_0
	v_lshlrev_b32_e32 v25, 3, v49
	v_add3_u32 v15, 0, v15, v23
	v_add3_u32 v23, 0, v48, v25
	s_mov_b32 s2, 0x3f5db3d7
	v_mul_u32_u24_e32 v26, 0x630, v26
	v_lshlrev_b32_e32 v13, 3, v13
	v_add3_u32 v13, 0, v26, v13
	s_waitcnt lgkmcnt(0)
	s_barrier
	s_waitcnt vmcnt(2)
	v_pk_mul_f32 v[48:49], v[36:37], v[32:33] op_sel:[0,1]
	v_pk_mul_f32 v[50:51], v[38:39], v[30:31] op_sel:[0,1]
	s_waitcnt vmcnt(1)
	v_pk_mul_f32 v[56:57], v[44:45], v[4:5] op_sel:[0,1]
	v_pk_mul_f32 v[58:59], v[46:47], v[8:9] op_sel:[0,1]
	;; [unrolled: 3-line block ×3, first 2 shown]
	v_pk_fma_f32 v[60:61], v[36:37], v[32:33], v[48:49] op_sel:[0,0,1] op_sel_hi:[1,1,0] neg_lo:[0,0,1] neg_hi:[0,0,1]
	v_pk_fma_f32 v[32:33], v[36:37], v[32:33], v[48:49] op_sel:[0,0,1] op_sel_hi:[1,0,0]
	v_pk_fma_f32 v[36:37], v[38:39], v[30:31], v[50:51] op_sel:[0,0,1] op_sel_hi:[1,1,0] neg_lo:[0,0,1] neg_hi:[0,0,1]
	v_pk_fma_f32 v[30:31], v[38:39], v[30:31], v[50:51] op_sel:[0,0,1] op_sel_hi:[1,0,0]
	v_pk_fma_f32 v[38:39], v[40:41], v[6:7], v[52:53] op_sel:[0,0,1] op_sel_hi:[1,1,0] neg_lo:[0,0,1] neg_hi:[0,0,1]
	v_pk_fma_f32 v[6:7], v[40:41], v[6:7], v[52:53] op_sel:[0,0,1] op_sel_hi:[1,0,0]
	v_pk_fma_f32 v[40:41], v[42:43], v[10:11], v[54:55] op_sel:[0,0,1] op_sel_hi:[1,1,0] neg_lo:[0,0,1] neg_hi:[0,0,1]
	v_pk_fma_f32 v[10:11], v[42:43], v[10:11], v[54:55] op_sel:[0,0,1] op_sel_hi:[1,0,0]
	v_pk_fma_f32 v[42:43], v[44:45], v[4:5], v[56:57] op_sel:[0,0,1] op_sel_hi:[1,1,0] neg_lo:[0,0,1] neg_hi:[0,0,1]
	v_pk_fma_f32 v[4:5], v[44:45], v[4:5], v[56:57] op_sel:[0,0,1] op_sel_hi:[1,0,0]
	v_pk_fma_f32 v[44:45], v[46:47], v[8:9], v[58:59] op_sel:[0,0,1] op_sel_hi:[1,1,0] neg_lo:[0,0,1] neg_hi:[0,0,1]
	v_pk_fma_f32 v[8:9], v[46:47], v[8:9], v[58:59] op_sel:[0,0,1] op_sel_hi:[1,0,0]
	v_mov_b32_e32 v61, v33
	v_mov_b32_e32 v37, v31
	v_mov_b32_e32 v39, v7
	v_mov_b32_e32 v41, v11
	v_mov_b32_e32 v43, v5
	v_mov_b32_e32 v45, v9
	v_pk_add_f32 v[6:7], v[2:3], v[38:39]
	v_pk_add_f32 v[8:9], v[0:1], v[42:43]
	;; [unrolled: 1-line block ×3, first 2 shown]
	v_pk_add_f32 v[30:31], v[42:43], v[44:45] neg_lo:[0,1] neg_hi:[0,1]
	v_pk_add_f32 v[32:33], v[38:39], v[40:41]
	v_pk_add_f32 v[38:39], v[38:39], v[40:41] neg_lo:[0,1] neg_hi:[0,1]
	v_pk_add_f32 v[42:43], v[60:61], v[36:37]
	;; [unrolled: 2-line block ×3, first 2 shown]
	v_pk_fma_f32 v[0:1], v[10:11], 0.5, v[0:1] op_sel_hi:[1,0,1] neg_lo:[1,0,0] neg_hi:[1,0,0]
	v_pk_mul_f32 v[10:11], v[30:31], s[2:3] op_sel_hi:[1,0]
	v_pk_fma_f32 v[2:3], v[32:33], 0.5, v[2:3] op_sel_hi:[1,0,1] neg_lo:[1,0,0] neg_hi:[1,0,0]
	v_pk_mul_f32 v[30:31], v[38:39], s[2:3] op_sel_hi:[1,0]
	;; [unrolled: 2-line block ×3, first 2 shown]
	v_pk_add_f32 v[4:5], v[4:5], v[36:37]
	v_pk_add_f32 v[36:37], v[0:1], v[10:11] op_sel:[0,1] op_sel_hi:[1,0]
	v_pk_add_f32 v[0:1], v[0:1], v[10:11] op_sel:[0,1] op_sel_hi:[1,0] neg_lo:[0,1] neg_hi:[0,1]
	v_pk_add_f32 v[10:11], v[2:3], v[30:31] op_sel:[0,1] op_sel_hi:[1,0]
	v_pk_add_f32 v[2:3], v[2:3], v[30:31] op_sel:[0,1] op_sel_hi:[1,0] neg_lo:[0,1] neg_hi:[0,1]
	v_pk_add_f32 v[30:31], v[28:29], v[32:33] op_sel:[0,1] op_sel_hi:[1,0]
	v_pk_add_f32 v[28:29], v[28:29], v[32:33] op_sel:[0,1] op_sel_hi:[1,0] neg_lo:[0,1] neg_hi:[0,1]
	v_pk_add_f32 v[8:9], v[8:9], v[44:45]
	v_mov_b32_e32 v32, v36
	v_mov_b32_e32 v33, v1
	;; [unrolled: 1-line block ×9, first 2 shown]
	v_pk_add_f32 v[6:7], v[6:7], v[40:41]
	ds_write2_b64 v15, v[8:9], v[32:33] offset1:66
	ds_write_b64 v15, v[0:1] offset:1056
	ds_write2_b64 v13, v[6:7], v[36:37] offset1:66
	ds_write_b64 v13, v[2:3] offset:1056
	;; [unrolled: 2-line block ×3, first 2 shown]
	s_and_saveexec_b64 s[6:7], vcc
	s_cbranch_execz .LBB0_21
; %bb.20:
	v_mul_u32_u24_sdwa v0, v12, s3 dst_sel:DWORD dst_unused:UNUSED_PAD src0_sel:WORD_0 src1_sel:DWORD
	v_lshrrev_b32_e32 v0, 22, v0
	v_mul_lo_u16_e32 v0, 0x42, v0
	v_sub_u16_e32 v5, v12, v0
	v_lshlrev_b32_e32 v0, 4, v5
	global_load_dwordx4 v[0:3], v0, s[4:5] offset:440
	v_mov_b32_e32 v4, v27
	v_mov_b32_e32 v6, v19
	v_lshl_add_u32 v10, v5, 3, 0
	v_add_u32_e32 v11, 0x3400, v10
	s_waitcnt vmcnt(0)
	v_pk_mul_f32 v[4:5], v[4:5], v[0:1] op_sel_hi:[0,1]
	v_pk_mul_f32 v[6:7], v[6:7], v[2:3] op_sel_hi:[0,1]
	v_pk_fma_f32 v[8:9], v[24:25], v[0:1], v[4:5] op_sel:[0,0,1] op_sel_hi:[1,1,0] neg_lo:[0,0,1] neg_hi:[0,0,1]
	v_pk_fma_f32 v[0:1], v[24:25], v[0:1], v[4:5] op_sel:[0,0,1] op_sel_hi:[0,1,0]
	v_pk_fma_f32 v[4:5], v[18:19], v[2:3], v[6:7] op_sel:[0,0,1] op_sel_hi:[1,1,0] neg_lo:[0,0,1] neg_hi:[0,0,1]
	v_pk_fma_f32 v[2:3], v[18:19], v[2:3], v[6:7] op_sel:[0,0,1] op_sel_hi:[0,1,0]
	v_mov_b32_e32 v9, v1
	v_mov_b32_e32 v5, v3
	v_pk_add_f32 v[0:1], v[16:17], v[8:9]
	v_pk_add_f32 v[2:3], v[8:9], v[4:5]
	v_pk_add_f32 v[6:7], v[8:9], v[4:5] neg_lo:[0,1] neg_hi:[0,1]
	v_pk_add_f32 v[0:1], v[0:1], v[4:5]
	v_pk_fma_f32 v[2:3], -0.5, v[2:3], v[16:17] op_sel_hi:[0,1,1]
	v_pk_mul_f32 v[4:5], v[6:7], s[2:3] op_sel_hi:[1,0]
	s_nop 0
	v_pk_add_f32 v[6:7], v[2:3], v[4:5] op_sel:[0,1] op_sel_hi:[1,0]
	v_pk_add_f32 v[2:3], v[2:3], v[4:5] op_sel:[0,1] op_sel_hi:[1,0] neg_lo:[0,1] neg_hi:[0,1]
	v_mov_b32_e32 v4, v6
	v_mov_b32_e32 v5, v3
	;; [unrolled: 1-line block ×3, first 2 shown]
	ds_write2_b64 v11, v[0:1], v[4:5] offset0:118 offset1:184
	ds_write_b64 v10, v[2:3] offset:15312
.LBB0_21:
	s_or_b64 exec, exec, s[6:7]
	v_lshlrev_b32_e32 v0, 2, v22
	v_mov_b32_e32 v1, 0
	v_lshl_add_u64 v[10:11], v[0:1], 3, s[4:5]
	s_waitcnt lgkmcnt(0)
	s_barrier
	global_load_dwordx4 v[2:5], v[10:11], off offset:1496
	global_load_dwordx4 v[6:9], v[10:11], off offset:1512
	ds_read_b64 v[10:11], v35
	v_add_u32_e32 v0, 0x1200, v68
	v_add_u32_e32 v53, 0x1e00, v68
	v_add_u32_e32 v13, 0x2a00, v68
	ds_read2_b64 v[16:19], v68 offset1:198
	ds_read2_b64 v[24:27], v0 offset0:18 offset1:216
	ds_read2_b64 v[28:31], v53 offset0:30 offset1:228
	;; [unrolled: 1-line block ×3, first 2 shown]
	ds_read_b64 v[32:33], v68 offset:14256
	s_mov_b32 s6, 0x3f737871
	s_mov_b32 s8, 0x3f167918
	;; [unrolled: 1-line block ×3, first 2 shown]
	s_waitcnt lgkmcnt(0)
	s_barrier
	v_mov_b32_e32 v23, v1
	v_mov_b32_e32 v15, v1
	v_mov_b32_e32 v13, v1
	s_waitcnt vmcnt(1)
	v_pk_mul_f32 v[40:41], v[2:3], v[10:11] op_sel:[0,1]
	v_pk_mul_f32 v[42:43], v[4:5], v[26:27] op_sel:[0,1]
	s_waitcnt vmcnt(0)
	v_pk_mul_f32 v[44:45], v[6:7], v[30:31] op_sel:[0,1]
	v_pk_mul_f32 v[46:47], v[8:9], v[38:39] op_sel:[0,1]
	;; [unrolled: 1-line block ×3, first 2 shown]
	v_mov_b32_e32 v0, v5
	v_pk_mul_f32 v[50:51], v[36:37], v[6:7] op_sel:[0,1]
	v_mov_b32_e32 v52, v9
	v_pk_fma_f32 v[54:55], v[2:3], v[10:11], v[40:41] op_sel:[0,0,1] op_sel_hi:[1,1,0] neg_lo:[0,0,1] neg_hi:[0,0,1]
	v_pk_fma_f32 v[10:11], v[2:3], v[10:11], v[40:41] op_sel:[0,0,1] op_sel_hi:[1,0,0]
	v_pk_fma_f32 v[40:41], v[4:5], v[26:27], v[42:43] op_sel:[0,0,1] op_sel_hi:[1,1,0] neg_lo:[0,0,1] neg_hi:[0,0,1]
	v_pk_fma_f32 v[26:27], v[4:5], v[26:27], v[42:43] op_sel:[0,0,1] op_sel_hi:[1,0,0]
	;; [unrolled: 2-line block ×5, first 2 shown]
	v_pk_mul_f32 v[24:25], v[28:29], v[0:1] op_sel_hi:[1,0]
	v_pk_fma_f32 v[48:49], v[36:37], v[6:7], v[50:51] op_sel:[0,0,1] op_sel_hi:[1,1,0] neg_lo:[0,0,1] neg_hi:[0,0,1]
	v_pk_fma_f32 v[6:7], v[36:37], v[6:7], v[50:51] op_sel:[0,0,1] op_sel_hi:[1,0,0]
	v_pk_mul_f32 v[36:37], v[32:33], v[52:53] op_sel_hi:[1,0]
	v_mov_b32_e32 v55, v11
	v_mov_b32_e32 v41, v27
	;; [unrolled: 1-line block ×5, first 2 shown]
	v_pk_fma_f32 v[2:3], v[28:29], v[4:5], v[24:25] op_sel:[0,0,1] op_sel_hi:[1,1,0] neg_lo:[0,0,1] neg_hi:[0,0,1]
	v_pk_fma_f32 v[4:5], v[28:29], v[4:5], v[24:25] op_sel:[0,0,1] op_sel_hi:[1,0,0]
	v_mov_b32_e32 v49, v7
	v_pk_fma_f32 v[6:7], v[32:33], v[8:9], v[36:37] op_sel:[0,0,1] op_sel_hi:[1,1,0] neg_lo:[0,0,1] neg_hi:[0,0,1]
	v_pk_fma_f32 v[8:9], v[32:33], v[8:9], v[36:37] op_sel:[0,0,1] op_sel_hi:[1,0,0]
	v_pk_add_f32 v[10:11], v[16:17], v[54:55]
	v_pk_add_f32 v[24:25], v[40:41], v[42:43]
	v_pk_add_f32 v[26:27], v[54:55], v[44:45] neg_lo:[0,1] neg_hi:[0,1]
	v_pk_add_f32 v[28:29], v[40:41], v[42:43] neg_lo:[0,1] neg_hi:[0,1]
	v_pk_add_f32 v[36:37], v[54:55], v[44:45]
	v_pk_add_f32 v[30:31], v[54:55], v[40:41] neg_lo:[0,1] neg_hi:[0,1]
	v_pk_add_f32 v[38:39], v[40:41], v[54:55] neg_lo:[0,1] neg_hi:[0,1]
	v_mov_b32_e32 v3, v5
	v_pk_add_f32 v[4:5], v[10:11], v[40:41]
	v_pk_fma_f32 v[10:11], v[24:25], 0.5, v[16:17] op_sel_hi:[1,0,1] neg_lo:[1,0,0] neg_hi:[1,0,0]
	v_pk_mul_f32 v[24:25], v[26:27], s[6:7] op_sel_hi:[1,0]
	v_pk_mul_f32 v[40:41], v[28:29], s[8:9] op_sel_hi:[1,0]
	v_pk_fma_f32 v[16:17], v[36:37], 0.5, v[16:17] op_sel_hi:[1,0,1] neg_lo:[1,0,0] neg_hi:[1,0,0]
	v_pk_mul_f32 v[28:29], v[28:29], s[6:7] op_sel_hi:[1,0]
	v_pk_mul_f32 v[26:27], v[26:27], s[8:9] op_sel_hi:[1,0]
	v_pk_add_f32 v[36:37], v[10:11], v[24:25] op_sel:[0,1] op_sel_hi:[1,0]
	v_pk_add_f32 v[10:11], v[10:11], v[24:25] op_sel:[0,1] op_sel_hi:[1,0] neg_lo:[0,1] neg_hi:[0,1]
	v_pk_add_f32 v[24:25], v[16:17], v[28:29] op_sel:[0,1] op_sel_hi:[1,0] neg_lo:[0,1] neg_hi:[0,1]
	v_pk_add_f32 v[16:17], v[16:17], v[28:29] op_sel:[0,1] op_sel_hi:[1,0]
	v_mov_b32_e32 v7, v9
	v_pk_add_f32 v[8:9], v[18:19], v[46:47]
	v_pk_add_f32 v[32:33], v[44:45], v[42:43] neg_lo:[0,1] neg_hi:[0,1]
	v_pk_add_f32 v[50:51], v[42:43], v[44:45] neg_lo:[0,1] neg_hi:[0,1]
	v_pk_add_f32 v[10:11], v[10:11], v[40:41] op_sel:[0,1] op_sel_hi:[1,0] neg_lo:[0,1] neg_hi:[0,1]
	v_pk_add_f32 v[28:29], v[36:37], v[40:41] op_sel:[0,1] op_sel_hi:[1,0]
	v_pk_add_f32 v[16:17], v[16:17], v[26:27] op_sel:[0,1] op_sel_hi:[1,0] neg_lo:[0,1] neg_hi:[0,1]
	v_pk_add_f32 v[24:25], v[24:25], v[26:27] op_sel:[0,1] op_sel_hi:[1,0]
	v_pk_add_f32 v[8:9], v[8:9], v[2:3]
	v_pk_add_f32 v[30:31], v[30:31], v[32:33]
	;; [unrolled: 1-line block ×4, first 2 shown]
	v_mov_b32_e32 v26, v28
	v_mov_b32_e32 v27, v11
	;; [unrolled: 1-line block ×5, first 2 shown]
	v_pk_add_f32 v[8:9], v[8:9], v[48:49]
	v_pk_add_f32 v[4:5], v[4:5], v[44:45]
	v_mov_b32_e32 v17, v25
	v_pk_fma_f32 v[24:25], v[30:31], s[2:3], v[26:27] op_sel_hi:[1,0,1]
	v_pk_fma_f32 v[26:27], v[32:33], s[2:3], v[36:37] op_sel_hi:[1,0,1]
	;; [unrolled: 1-line block ×3, first 2 shown]
	v_pk_add_f32 v[8:9], v[8:9], v[6:7]
	v_add_u32_e32 v36, 0x1800, v68
	v_pk_fma_f32 v[16:17], v[32:33], s[2:3], v[16:17] op_sel_hi:[1,0,1]
	ds_write2_b64 v68, v[4:5], v[24:25] offset1:198
	v_add_u32_e32 v0, 0xc00, v68
	ds_write2_b64 v36, v[10:11], v[8:9] offset0:24 offset1:222
	v_pk_add_f32 v[4:5], v[2:3], v[48:49]
	v_pk_add_f32 v[8:9], v[46:47], v[6:7] neg_lo:[0,1] neg_hi:[0,1]
	ds_write2_b64 v0, v[26:27], v[16:17] offset0:12 offset1:210
	v_pk_fma_f32 v[4:5], v[4:5], 0.5, v[18:19] op_sel_hi:[1,0,1] neg_lo:[1,0,0] neg_hi:[1,0,0]
	v_pk_mul_f32 v[10:11], v[8:9], s[6:7] op_sel_hi:[1,0]
	v_pk_add_f32 v[16:17], v[2:3], v[48:49] neg_lo:[0,1] neg_hi:[0,1]
	v_pk_add_f32 v[26:27], v[46:47], v[2:3] neg_lo:[0,1] neg_hi:[0,1]
	;; [unrolled: 1-line block ×3, first 2 shown]
	v_pk_mul_f32 v[24:25], v[16:17], s[8:9] op_sel_hi:[1,0]
	v_pk_add_f32 v[26:27], v[26:27], v[28:29]
	v_pk_add_f32 v[28:29], v[4:5], v[10:11] op_sel:[0,1] op_sel_hi:[1,0]
	v_pk_add_f32 v[4:5], v[4:5], v[10:11] op_sel:[0,1] op_sel_hi:[1,0] neg_lo:[0,1] neg_hi:[0,1]
	v_pk_add_f32 v[10:11], v[28:29], v[24:25] op_sel:[0,1] op_sel_hi:[1,0]
	v_pk_add_f32 v[28:29], v[46:47], v[6:7]
	v_pk_add_f32 v[2:3], v[2:3], v[46:47] neg_lo:[0,1] neg_hi:[0,1]
	v_pk_add_f32 v[6:7], v[48:49], v[6:7] neg_lo:[0,1] neg_hi:[0,1]
	v_pk_fma_f32 v[18:19], v[28:29], 0.5, v[18:19] op_sel_hi:[1,0,1] neg_lo:[1,0,0] neg_hi:[1,0,0]
	v_pk_add_f32 v[2:3], v[2:3], v[6:7]
	v_pk_mul_f32 v[6:7], v[16:17], s[6:7] op_sel_hi:[1,0]
	v_pk_mul_f32 v[8:9], v[8:9], s[8:9] op_sel_hi:[1,0]
	v_pk_add_f32 v[16:17], v[18:19], v[6:7] op_sel:[0,1] op_sel_hi:[1,0] neg_lo:[0,1] neg_hi:[0,1]
	v_pk_add_f32 v[6:7], v[18:19], v[6:7] op_sel:[0,1] op_sel_hi:[1,0]
	v_pk_add_f32 v[4:5], v[4:5], v[24:25] op_sel:[0,1] op_sel_hi:[1,0] neg_lo:[0,1] neg_hi:[0,1]
	v_pk_add_f32 v[6:7], v[6:7], v[8:9] op_sel:[0,1] op_sel_hi:[1,0] neg_lo:[0,1] neg_hi:[0,1]
	v_pk_add_f32 v[8:9], v[16:17], v[8:9] op_sel:[0,1] op_sel_hi:[1,0]
	v_mov_b32_e32 v24, v10
	v_mov_b32_e32 v25, v5
	;; [unrolled: 1-line block ×4, first 2 shown]
	v_pk_fma_f32 v[24:25], v[26:27], s[2:3], v[24:25] op_sel_hi:[1,0,1]
	v_pk_fma_f32 v[16:17], v[2:3], s[2:3], v[16:17] op_sel_hi:[1,0,1]
	v_add_u32_e32 v8, 0x2400, v68
	v_mov_b32_e32 v7, v9
	v_mov_b32_e32 v5, v11
	ds_write2_b64 v8, v[24:25], v[16:17] offset0:36 offset1:234
	v_pk_fma_f32 v[2:3], v[2:3], s[2:3], v[6:7] op_sel_hi:[1,0,1]
	v_pk_fma_f32 v[4:5], v[26:27], s[2:3], v[4:5] op_sel_hi:[1,0,1]
	v_add_u32_e32 v16, 0x3000, v68
	ds_write2_b64 v16, v[2:3], v[4:5] offset0:48 offset1:246
	v_lshl_add_u64 v[2:3], v[22:23], 3, s[4:5]
	s_movk_i32 s2, 0x1000
	v_add_co_u32_e32 v6, vcc, s2, v2
	s_movk_i32 s3, 0x2000
	s_nop 0
	v_addc_co_u32_e32 v7, vcc, 0, v3, vcc
	s_waitcnt lgkmcnt(0)
	s_barrier
	global_load_dwordx2 v[24:25], v[6:7], off offset:3736
	v_add_co_u32_e32 v6, vcc, s3, v2
	v_lshl_add_u64 v[4:5], v[14:15], 3, s[4:5]
	s_nop 0
	v_addc_co_u32_e32 v7, vcc, 0, v3, vcc
	v_add_co_u32_e32 v0, vcc, s2, v4
	global_load_dwordx2 v[26:27], v[6:7], off offset:1224
	s_nop 0
	v_addc_co_u32_e32 v1, vcc, 0, v5, vcc
	global_load_dwordx2 v[28:29], v[0:1], off offset:3736
	v_lshl_add_u64 v[0:1], v[12:13], 3, s[4:5]
	v_add_co_u32_e32 v0, vcc, s2, v0
	s_movk_i32 s2, 0x3000
	s_nop 0
	v_addc_co_u32_e32 v1, vcc, 0, v1, vcc
	global_load_dwordx2 v[30:31], v[0:1], off offset:3736
	v_add_co_u32_e32 v0, vcc, s2, v2
	s_add_u32 s2, s4, 0x3d88
	s_nop 0
	v_addc_co_u32_e32 v1, vcc, 0, v3, vcc
	global_load_dwordx2 v[32:33], v[0:1], off offset:1880
	ds_read2_b64 v[0:3], v68 offset1:198
	ds_read2_b64 v[4:7], v36 offset0:24 offset1:222
	ds_read2_b64 v[8:11], v8 offset0:36 offset1:234
	ds_read_b64 v[36:37], v35
	ds_read_b64 v[38:39], v34
	ds_read2_b64 v[16:19], v16 offset0:48 offset1:246
	s_waitcnt lgkmcnt(0)
	s_barrier
	s_addc_u32 s3, s5, 0
	v_cmp_ne_u32_e32 vcc, 0, v22
	s_waitcnt vmcnt(4)
	v_pk_mul_f32 v[40:41], v[24:25], v[6:7] op_sel:[0,1]
	s_nop 0
	v_pk_fma_f32 v[42:43], v[24:25], v[6:7], v[40:41] op_sel:[0,0,1] op_sel_hi:[1,1,0] neg_lo:[0,0,1] neg_hi:[0,0,1]
	v_pk_fma_f32 v[6:7], v[24:25], v[6:7], v[40:41] op_sel:[0,0,1] op_sel_hi:[1,0,0]
	s_waitcnt vmcnt(3)
	v_pk_mul_f32 v[24:25], v[26:27], v[8:9] op_sel:[0,1]
	s_nop 0
	v_pk_fma_f32 v[40:41], v[26:27], v[8:9], v[24:25] op_sel:[0,0,1] op_sel_hi:[1,1,0] neg_lo:[0,0,1] neg_hi:[0,0,1]
	v_pk_fma_f32 v[8:9], v[26:27], v[8:9], v[24:25] op_sel:[0,0,1] op_sel_hi:[1,0,0]
	s_waitcnt vmcnt(2)
	v_pk_mul_f32 v[24:25], v[28:29], v[10:11] op_sel:[0,1]
	v_mov_b32_e32 v43, v7
	v_pk_fma_f32 v[26:27], v[28:29], v[10:11], v[24:25] op_sel:[0,0,1] op_sel_hi:[1,1,0] neg_lo:[0,0,1] neg_hi:[0,0,1]
	v_pk_fma_f32 v[10:11], v[28:29], v[10:11], v[24:25] op_sel:[0,0,1] op_sel_hi:[1,0,0]
	v_mov_b32_e32 v41, v9
	v_mov_b32_e32 v27, v11
	v_pk_add_f32 v[10:11], v[36:37], v[26:27] neg_lo:[0,1] neg_hi:[0,1]
	s_waitcnt vmcnt(1)
	v_pk_mul_f32 v[26:27], v[30:31], v[16:17] op_sel:[0,1]
	v_pk_add_f32 v[6:7], v[0:1], v[42:43] neg_lo:[0,1] neg_hi:[0,1]
	v_pk_fma_f32 v[28:29], v[30:31], v[16:17], v[26:27] op_sel:[0,0,1] op_sel_hi:[1,1,0] neg_lo:[0,0,1] neg_hi:[0,0,1]
	v_pk_fma_f32 v[16:17], v[30:31], v[16:17], v[26:27] op_sel:[0,0,1] op_sel_hi:[1,0,0]
	v_pk_add_f32 v[8:9], v[2:3], v[40:41] neg_lo:[0,1] neg_hi:[0,1]
	v_mov_b32_e32 v29, v17
	v_pk_add_f32 v[16:17], v[38:39], v[28:29] neg_lo:[0,1] neg_hi:[0,1]
	s_waitcnt vmcnt(0)
	v_pk_mul_f32 v[28:29], v[32:33], v[18:19] op_sel:[0,1]
	v_pk_fma_f32 v[0:1], v[0:1], 2.0, v[6:7] op_sel_hi:[1,0,1] neg_lo:[0,0,1] neg_hi:[0,0,1]
	v_pk_fma_f32 v[30:31], v[32:33], v[18:19], v[28:29] op_sel:[0,0,1] op_sel_hi:[1,1,0] neg_lo:[0,0,1] neg_hi:[0,0,1]
	v_pk_fma_f32 v[18:19], v[32:33], v[18:19], v[28:29] op_sel:[0,0,1] op_sel_hi:[1,0,0]
	v_pk_fma_f32 v[2:3], v[2:3], 2.0, v[8:9] op_sel_hi:[1,0,1] neg_lo:[0,0,1] neg_hi:[0,0,1]
	v_mov_b32_e32 v31, v19
	v_pk_add_f32 v[18:19], v[4:5], v[30:31] neg_lo:[0,1] neg_hi:[0,1]
	v_pk_fma_f32 v[24:25], v[36:37], 2.0, v[10:11] op_sel_hi:[1,0,1] neg_lo:[0,0,1] neg_hi:[0,0,1]
	v_pk_fma_f32 v[26:27], v[38:39], 2.0, v[16:17] op_sel_hi:[1,0,1] neg_lo:[0,0,1] neg_hi:[0,0,1]
	;; [unrolled: 1-line block ×3, first 2 shown]
	ds_write2_b64 v68, v[0:1], v[2:3] offset1:198
	ds_write2_b64 v53, v[6:7], v[8:9] offset0:30 offset1:228
	ds_write_b64 v35, v[24:25]
	ds_write_b64 v35, v[10:11] offset:7920
	ds_write_b64 v34, v[26:27]
	ds_write_b64 v34, v[16:17] offset:7920
	ds_write_b64 v68, v[4:5] offset:6336
	ds_write_b64 v68, v[18:19] offset:14256
	s_waitcnt lgkmcnt(0)
	s_barrier
	ds_read_b64 v[6:7], v68
	v_lshlrev_b32_e32 v0, 3, v22
	v_sub_u32_e32 v8, 0, v0
	v_lshl_add_u64 v[0:1], v[22:23], 3, s[2:3]
                                        ; implicit-def: $vgpr5
                                        ; implicit-def: $vgpr2_vgpr3
	s_and_saveexec_b64 s[4:5], vcc
	s_xor_b64 s[4:5], exec, s[4:5]
	s_cbranch_execz .LBB0_23
; %bb.22:
	global_load_dwordx2 v[2:3], v[0:1], off
	ds_read_b64 v[4:5], v8 offset:15840
	v_mov_b32_e32 v11, 0.5
	v_mov_b32_e32 v16, v11
	s_waitcnt lgkmcnt(0)
	v_pk_add_f32 v[18:19], v[4:5], v[6:7]
	v_pk_add_f32 v[4:5], v[6:7], v[4:5] neg_lo:[0,1] neg_hi:[0,1]
	v_mov_b32_e32 v6, v19
	v_mov_b32_e32 v7, v4
	v_pk_mul_f32 v[6:7], v[6:7], 0.5 op_sel_hi:[1,0]
	s_waitcnt vmcnt(0)
	v_mov_b32_e32 v10, v3
	v_mov_b32_e32 v4, v7
	v_mov_b32_e32 v19, v6
	v_mov_b32_e32 v17, v3
	v_pk_mul_f32 v[4:5], v[10:11], v[4:5]
	v_pk_mul_f32 v[24:25], v[2:3], v[6:7] op_sel_hi:[0,1]
	v_pk_fma_f32 v[10:11], v[18:19], v[16:17], v[4:5]
	v_pk_fma_f32 v[16:17], v[18:19], v[16:17], v[4:5] neg_lo:[0,0,1] neg_hi:[0,0,1]
	v_pk_fma_f32 v[4:5], v[2:3], v[6:7], v[10:11] op_sel_hi:[0,1,1] neg_lo:[1,0,0] neg_hi:[1,0,0]
	v_pk_fma_f32 v[2:3], v[2:3], v[6:7], v[16:17] op_sel_hi:[0,1,1] neg_lo:[1,0,0] neg_hi:[1,0,0]
	v_add_f32_e32 v4, v10, v24
                                        ; implicit-def: $vgpr6_vgpr7
.LBB0_23:
	s_andn2_saveexec_b64 s[4:5], s[4:5]
	s_cbranch_execz .LBB0_25
; %bb.24:
	s_waitcnt lgkmcnt(0)
	v_mov_b32_e32 v2, v7
	v_pk_add_f32 v[2:3], v[6:7], v[2:3] neg_lo:[0,1] neg_hi:[0,1]
	v_add_f32_e32 v4, v7, v6
	v_mov_b32_e32 v3, 0
	ds_read_b32 v5, v3 offset:7924
	s_waitcnt lgkmcnt(0)
	v_xor_b32_e32 v5, 0x80000000, v5
	ds_write_b32 v3, v5 offset:7924
	v_mov_b32_e32 v5, v3
.LBB0_25:
	s_or_b64 exec, exec, s[4:5]
	s_waitcnt lgkmcnt(0)
	global_load_dwordx2 v[6:7], v[0:1], off offset:1584
	v_lshl_add_u64 v[10:11], v[14:15], 3, s[2:3]
	global_load_dwordx2 v[10:11], v[10:11], off
	v_lshl_add_u64 v[12:13], v[12:13], 3, s[2:3]
	global_load_dwordx2 v[12:13], v[12:13], off
	s_movk_i32 s2, 0x1000
	v_add_co_u32_e32 v0, vcc, s2, v0
	v_mov_b32_e32 v15, 0.5
	s_nop 0
	v_addc_co_u32_e32 v1, vcc, 0, v1, vcc
	global_load_dwordx2 v[0:1], v[0:1], off offset:2240
	ds_write_b64 v68, v[4:5]
	ds_write_b64 v8, v[2:3] offset:15840
	ds_read_b64 v[2:3], v68 offset:1584
	ds_read_b64 v[4:5], v8 offset:14256
	v_mov_b32_e32 v16, v15
	s_waitcnt lgkmcnt(0)
	v_pk_add_f32 v[18:19], v[2:3], v[4:5]
	v_pk_add_f32 v[2:3], v[2:3], v[4:5] neg_lo:[0,1] neg_hi:[0,1]
	v_mov_b32_e32 v4, v19
	v_mov_b32_e32 v5, v2
	v_pk_mul_f32 v[4:5], v[4:5], 0.5 op_sel_hi:[1,0]
	s_waitcnt vmcnt(3)
	v_mov_b32_e32 v17, v7
	v_mov_b32_e32 v19, v4
	;; [unrolled: 1-line block ×4, first 2 shown]
	v_pk_mul_f32 v[16:17], v[18:19], v[16:17]
	s_nop 0
	v_pk_fma_f32 v[18:19], v[14:15], v[2:3], v[16:17] neg_lo:[1,0,0] neg_hi:[1,0,0]
	v_pk_fma_f32 v[2:3], v[14:15], v[2:3], v[16:17]
	v_pk_fma_f32 v[16:17], v[6:7], v[4:5], v[18:19] op_sel_hi:[0,1,1] neg_lo:[1,0,0] neg_hi:[1,0,0]
	v_pk_fma_f32 v[18:19], v[6:7], v[4:5], v[2:3] op_sel_hi:[0,1,1]
	v_pk_fma_f32 v[2:3], v[6:7], v[4:5], v[2:3] op_sel_hi:[0,1,1] neg_lo:[1,0,0] neg_hi:[1,0,0]
	v_mov_b32_e32 v19, v3
	ds_write_b64 v68, v[18:19] offset:1584
	ds_write_b64 v8, v[16:17] offset:14256
	ds_read_b64 v[2:3], v35
	ds_read_b64 v[4:5], v8 offset:12672
	v_mov_b32_e32 v6, v15
	s_waitcnt vmcnt(2)
	v_mov_b32_e32 v7, v11
	v_mov_b32_e32 v14, v11
	s_waitcnt lgkmcnt(0)
	v_pk_add_f32 v[16:17], v[2:3], v[4:5]
	v_pk_add_f32 v[2:3], v[2:3], v[4:5] neg_lo:[0,1] neg_hi:[0,1]
	v_mov_b32_e32 v4, v17
	v_mov_b32_e32 v5, v2
	v_pk_mul_f32 v[4:5], v[4:5], 0.5 op_sel_hi:[1,0]
	s_nop 0
	v_mov_b32_e32 v17, v4
	v_mov_b32_e32 v2, v5
	v_pk_mul_f32 v[6:7], v[16:17], v[6:7]
	s_nop 0
	v_pk_fma_f32 v[16:17], v[14:15], v[2:3], v[6:7] neg_lo:[1,0,0] neg_hi:[1,0,0]
	v_pk_fma_f32 v[2:3], v[14:15], v[2:3], v[6:7]
	v_pk_fma_f32 v[6:7], v[10:11], v[4:5], v[16:17] op_sel_hi:[0,1,1] neg_lo:[1,0,0] neg_hi:[1,0,0]
	v_pk_fma_f32 v[16:17], v[10:11], v[4:5], v[2:3] op_sel_hi:[0,1,1]
	v_pk_fma_f32 v[2:3], v[10:11], v[4:5], v[2:3] op_sel_hi:[0,1,1] neg_lo:[1,0,0] neg_hi:[1,0,0]
	v_mov_b32_e32 v17, v3
	ds_write_b64 v35, v[16:17]
	ds_write_b64 v8, v[6:7] offset:12672
	ds_read_b64 v[2:3], v34
	ds_read_b64 v[4:5], v8 offset:11088
	v_mov_b32_e32 v6, v15
	s_waitcnt vmcnt(1)
	v_mov_b32_e32 v7, v13
	v_mov_b32_e32 v14, v13
	s_waitcnt lgkmcnt(0)
	v_pk_add_f32 v[10:11], v[2:3], v[4:5]
	v_pk_add_f32 v[2:3], v[2:3], v[4:5] neg_lo:[0,1] neg_hi:[0,1]
	v_mov_b32_e32 v4, v11
	v_mov_b32_e32 v5, v2
	v_pk_mul_f32 v[4:5], v[4:5], 0.5 op_sel_hi:[1,0]
	s_nop 0
	v_mov_b32_e32 v11, v4
	v_mov_b32_e32 v2, v5
	v_pk_mul_f32 v[6:7], v[10:11], v[6:7]
	s_nop 0
	v_pk_fma_f32 v[10:11], v[14:15], v[2:3], v[6:7] neg_lo:[1,0,0] neg_hi:[1,0,0]
	v_pk_fma_f32 v[2:3], v[14:15], v[2:3], v[6:7]
	v_pk_fma_f32 v[6:7], v[12:13], v[4:5], v[10:11] op_sel_hi:[0,1,1] neg_lo:[1,0,0] neg_hi:[1,0,0]
	v_pk_fma_f32 v[10:11], v[12:13], v[4:5], v[2:3] op_sel_hi:[0,1,1]
	v_pk_fma_f32 v[2:3], v[12:13], v[4:5], v[2:3] op_sel_hi:[0,1,1] neg_lo:[1,0,0] neg_hi:[1,0,0]
	v_mov_b32_e32 v11, v3
	ds_write_b64 v34, v[10:11]
	ds_write_b64 v8, v[6:7] offset:11088
	ds_read_b64 v[2:3], v68 offset:6336
	ds_read_b64 v[4:5], v8 offset:9504
	v_mov_b32_e32 v6, v15
	s_waitcnt vmcnt(0)
	v_mov_b32_e32 v7, v1
	v_mov_b32_e32 v14, v1
	s_waitcnt lgkmcnt(0)
	v_pk_add_f32 v[10:11], v[2:3], v[4:5]
	v_pk_add_f32 v[2:3], v[2:3], v[4:5] neg_lo:[0,1] neg_hi:[0,1]
	v_mov_b32_e32 v4, v11
	v_mov_b32_e32 v5, v2
	v_pk_mul_f32 v[4:5], v[4:5], 0.5 op_sel_hi:[1,0]
	s_nop 0
	v_mov_b32_e32 v11, v4
	v_mov_b32_e32 v2, v5
	v_pk_mul_f32 v[6:7], v[10:11], v[6:7]
	s_nop 0
	v_pk_fma_f32 v[10:11], v[14:15], v[2:3], v[6:7] neg_lo:[1,0,0] neg_hi:[1,0,0]
	v_pk_fma_f32 v[2:3], v[14:15], v[2:3], v[6:7]
	v_pk_fma_f32 v[6:7], v[0:1], v[4:5], v[10:11] op_sel_hi:[0,1,1] neg_lo:[1,0,0] neg_hi:[1,0,0]
	v_pk_fma_f32 v[10:11], v[0:1], v[4:5], v[2:3] op_sel_hi:[0,1,1]
	v_pk_fma_f32 v[0:1], v[0:1], v[4:5], v[2:3] op_sel_hi:[0,1,1] neg_lo:[1,0,0] neg_hi:[1,0,0]
	v_mov_b32_e32 v11, v1
	ds_write_b64 v68, v[10:11] offset:6336
	ds_write_b64 v8, v[6:7] offset:9504
	s_waitcnt lgkmcnt(0)
	s_barrier
	s_and_saveexec_b64 s[2:3], s[0:1]
	s_cbranch_execz .LBB0_28
; %bb.26:
	ds_read2_b64 v[0:3], v68 offset1:198
	v_add_u32_e32 v4, 0xc00, v68
	ds_read2_b64 v[4:7], v4 offset0:12 offset1:210
	v_lshl_add_u64 v[8:9], v[22:23], 3, v[20:21]
	s_movk_i32 s0, 0xc5
	s_waitcnt lgkmcnt(1)
	global_store_dwordx2 v[8:9], v[0:1], off
	global_store_dwordx2 v[8:9], v[2:3], off offset:1584
	s_waitcnt lgkmcnt(0)
	global_store_dwordx2 v[8:9], v[4:5], off offset:3168
	v_add_u32_e32 v0, 0x1800, v68
	ds_read2_b64 v[0:3], v0 offset0:24 offset1:222
	v_add_co_u32_e32 v4, vcc, 0x1000, v8
	s_nop 1
	v_addc_co_u32_e32 v5, vcc, 0, v9, vcc
	global_store_dwordx2 v[4:5], v[6:7], off offset:656
	s_waitcnt lgkmcnt(0)
	global_store_dwordx2 v[4:5], v[0:1], off offset:2240
	global_store_dwordx2 v[4:5], v[2:3], off offset:3824
	v_add_u32_e32 v0, 0x2400, v68
	ds_read2_b64 v[0:3], v0 offset0:36 offset1:234
	v_add_co_u32_e32 v4, vcc, 0x2000, v8
	s_nop 1
	v_addc_co_u32_e32 v5, vcc, 0, v9, vcc
	s_waitcnt lgkmcnt(0)
	global_store_dwordx2 v[4:5], v[0:1], off offset:1312
	global_store_dwordx2 v[4:5], v[2:3], off offset:2896
	v_add_u32_e32 v0, 0x3000, v68
	ds_read2_b64 v[0:3], v0 offset0:48 offset1:246
	v_add_co_u32_e32 v4, vcc, 0x3000, v8
	s_nop 1
	v_addc_co_u32_e32 v5, vcc, 0, v9, vcc
	v_cmp_eq_u32_e32 vcc, s0, v22
	s_waitcnt lgkmcnt(0)
	global_store_dwordx2 v[4:5], v[0:1], off offset:384
	global_store_dwordx2 v[4:5], v[2:3], off offset:1968
	s_and_b64 exec, exec, vcc
	s_cbranch_execz .LBB0_28
; %bb.27:
	v_mov_b32_e32 v0, 0
	ds_read_b64 v[0:1], v0 offset:15840
	v_add_co_u32_e32 v2, vcc, 0x3000, v20
	s_nop 1
	v_addc_co_u32_e32 v3, vcc, 0, v21, vcc
	s_waitcnt lgkmcnt(0)
	global_store_dwordx2 v[2:3], v[0:1], off offset:3552
.LBB0_28:
	s_endpgm
	.section	.rodata,"a",@progbits
	.p2align	6, 0x0
	.amdhsa_kernel fft_rtc_fwd_len1980_factors_11_2_3_3_5_2_wgs_198_tpt_198_halfLds_sp_ip_CI_unitstride_sbrr_R2C_dirReg
		.amdhsa_group_segment_fixed_size 0
		.amdhsa_private_segment_fixed_size 0
		.amdhsa_kernarg_size 88
		.amdhsa_user_sgpr_count 2
		.amdhsa_user_sgpr_dispatch_ptr 0
		.amdhsa_user_sgpr_queue_ptr 0
		.amdhsa_user_sgpr_kernarg_segment_ptr 1
		.amdhsa_user_sgpr_dispatch_id 0
		.amdhsa_user_sgpr_kernarg_preload_length 0
		.amdhsa_user_sgpr_kernarg_preload_offset 0
		.amdhsa_user_sgpr_private_segment_size 0
		.amdhsa_uses_dynamic_stack 0
		.amdhsa_enable_private_segment 0
		.amdhsa_system_sgpr_workgroup_id_x 1
		.amdhsa_system_sgpr_workgroup_id_y 0
		.amdhsa_system_sgpr_workgroup_id_z 0
		.amdhsa_system_sgpr_workgroup_info 0
		.amdhsa_system_vgpr_workitem_id 0
		.amdhsa_next_free_vgpr 96
		.amdhsa_next_free_sgpr 30
		.amdhsa_accum_offset 96
		.amdhsa_reserve_vcc 1
		.amdhsa_float_round_mode_32 0
		.amdhsa_float_round_mode_16_64 0
		.amdhsa_float_denorm_mode_32 3
		.amdhsa_float_denorm_mode_16_64 3
		.amdhsa_dx10_clamp 1
		.amdhsa_ieee_mode 1
		.amdhsa_fp16_overflow 0
		.amdhsa_tg_split 0
		.amdhsa_exception_fp_ieee_invalid_op 0
		.amdhsa_exception_fp_denorm_src 0
		.amdhsa_exception_fp_ieee_div_zero 0
		.amdhsa_exception_fp_ieee_overflow 0
		.amdhsa_exception_fp_ieee_underflow 0
		.amdhsa_exception_fp_ieee_inexact 0
		.amdhsa_exception_int_div_zero 0
	.end_amdhsa_kernel
	.text
.Lfunc_end0:
	.size	fft_rtc_fwd_len1980_factors_11_2_3_3_5_2_wgs_198_tpt_198_halfLds_sp_ip_CI_unitstride_sbrr_R2C_dirReg, .Lfunc_end0-fft_rtc_fwd_len1980_factors_11_2_3_3_5_2_wgs_198_tpt_198_halfLds_sp_ip_CI_unitstride_sbrr_R2C_dirReg
                                        ; -- End function
	.section	.AMDGPU.csdata,"",@progbits
; Kernel info:
; codeLenInByte = 8700
; NumSgprs: 36
; NumVgprs: 96
; NumAgprs: 0
; TotalNumVgprs: 96
; ScratchSize: 0
; MemoryBound: 0
; FloatMode: 240
; IeeeMode: 1
; LDSByteSize: 0 bytes/workgroup (compile time only)
; SGPRBlocks: 4
; VGPRBlocks: 11
; NumSGPRsForWavesPerEU: 36
; NumVGPRsForWavesPerEU: 96
; AccumOffset: 96
; Occupancy: 5
; WaveLimiterHint : 1
; COMPUTE_PGM_RSRC2:SCRATCH_EN: 0
; COMPUTE_PGM_RSRC2:USER_SGPR: 2
; COMPUTE_PGM_RSRC2:TRAP_HANDLER: 0
; COMPUTE_PGM_RSRC2:TGID_X_EN: 1
; COMPUTE_PGM_RSRC2:TGID_Y_EN: 0
; COMPUTE_PGM_RSRC2:TGID_Z_EN: 0
; COMPUTE_PGM_RSRC2:TIDIG_COMP_CNT: 0
; COMPUTE_PGM_RSRC3_GFX90A:ACCUM_OFFSET: 23
; COMPUTE_PGM_RSRC3_GFX90A:TG_SPLIT: 0
	.text
	.p2alignl 6, 3212836864
	.fill 256, 4, 3212836864
	.type	__hip_cuid_30ea5c49c1222c79,@object ; @__hip_cuid_30ea5c49c1222c79
	.section	.bss,"aw",@nobits
	.globl	__hip_cuid_30ea5c49c1222c79
__hip_cuid_30ea5c49c1222c79:
	.byte	0                               ; 0x0
	.size	__hip_cuid_30ea5c49c1222c79, 1

	.ident	"AMD clang version 19.0.0git (https://github.com/RadeonOpenCompute/llvm-project roc-6.4.0 25133 c7fe45cf4b819c5991fe208aaa96edf142730f1d)"
	.section	".note.GNU-stack","",@progbits
	.addrsig
	.addrsig_sym __hip_cuid_30ea5c49c1222c79
	.amdgpu_metadata
---
amdhsa.kernels:
  - .agpr_count:     0
    .args:
      - .actual_access:  read_only
        .address_space:  global
        .offset:         0
        .size:           8
        .value_kind:     global_buffer
      - .offset:         8
        .size:           8
        .value_kind:     by_value
      - .actual_access:  read_only
        .address_space:  global
        .offset:         16
        .size:           8
        .value_kind:     global_buffer
      - .actual_access:  read_only
        .address_space:  global
        .offset:         24
        .size:           8
        .value_kind:     global_buffer
      - .offset:         32
        .size:           8
        .value_kind:     by_value
      - .actual_access:  read_only
        .address_space:  global
        .offset:         40
        .size:           8
        .value_kind:     global_buffer
      - .actual_access:  read_only
        .address_space:  global
        .offset:         48
        .size:           8
        .value_kind:     global_buffer
      - .offset:         56
        .size:           4
        .value_kind:     by_value
      - .actual_access:  read_only
        .address_space:  global
        .offset:         64
        .size:           8
        .value_kind:     global_buffer
      - .actual_access:  read_only
        .address_space:  global
        .offset:         72
        .size:           8
        .value_kind:     global_buffer
      - .address_space:  global
        .offset:         80
        .size:           8
        .value_kind:     global_buffer
    .group_segment_fixed_size: 0
    .kernarg_segment_align: 8
    .kernarg_segment_size: 88
    .language:       OpenCL C
    .language_version:
      - 2
      - 0
    .max_flat_workgroup_size: 198
    .name:           fft_rtc_fwd_len1980_factors_11_2_3_3_5_2_wgs_198_tpt_198_halfLds_sp_ip_CI_unitstride_sbrr_R2C_dirReg
    .private_segment_fixed_size: 0
    .sgpr_count:     36
    .sgpr_spill_count: 0
    .symbol:         fft_rtc_fwd_len1980_factors_11_2_3_3_5_2_wgs_198_tpt_198_halfLds_sp_ip_CI_unitstride_sbrr_R2C_dirReg.kd
    .uniform_work_group_size: 1
    .uses_dynamic_stack: false
    .vgpr_count:     96
    .vgpr_spill_count: 0
    .wavefront_size: 64
amdhsa.target:   amdgcn-amd-amdhsa--gfx950
amdhsa.version:
  - 1
  - 2
...

	.end_amdgpu_metadata
